;; amdgpu-corpus repo=LLNL/RAJAPerf kind=compiled arch=gfx906 opt=O3
	.amdgcn_target "amdgcn-amd-amdhsa--gfx906"
	.amdhsa_code_object_version 6
	.section	.text._ZN8rajaperf5lcals9first_minILm256EEEvPdP8MyMinLocS3_l,"axG",@progbits,_ZN8rajaperf5lcals9first_minILm256EEEvPdP8MyMinLocS3_l,comdat
	.protected	_ZN8rajaperf5lcals9first_minILm256EEEvPdP8MyMinLocS3_l ; -- Begin function _ZN8rajaperf5lcals9first_minILm256EEEvPdP8MyMinLocS3_l
	.globl	_ZN8rajaperf5lcals9first_minILm256EEEvPdP8MyMinLocS3_l
	.p2align	8
	.type	_ZN8rajaperf5lcals9first_minILm256EEEvPdP8MyMinLocS3_l,@function
_ZN8rajaperf5lcals9first_minILm256EEEvPdP8MyMinLocS3_l: ; @_ZN8rajaperf5lcals9first_minILm256EEEvPdP8MyMinLocS3_l
; %bb.0:
	s_load_dwordx8 s[8:15], s[4:5], 0x0
	s_load_dwordx2 s[0:1], s[4:5], 0x20
	s_mov_b32 s7, 0
	s_lshl_b64 s[2:3], s[6:7], 8
	v_or_b32_e32 v1, s2, v0
	v_mov_b32_e32 v2, s3
	s_waitcnt lgkmcnt(0)
	v_mov_b32_e32 v3, s12
	v_mov_b32_e32 v5, s14
	v_cmp_gt_i64_e32 vcc, s[0:1], v[1:2]
	v_lshl_add_u32 v9, v0, 4, 0
	v_mov_b32_e32 v4, s13
	v_mov_b32_e32 v6, s15
	ds_write2_b64 v9, v[3:4], v[5:6] offset1:1
	s_and_saveexec_b64 s[2:3], vcc
	s_cbranch_execz .LBB0_5
; %bb.1:
	s_load_dword s12, s[4:5], 0x28
	s_mov_b32 s13, s7
	ds_read_b64 v[3:4], v9
	s_lshl_b64 s[14:15], s[6:7], 11
	v_lshlrev_b32_e32 v5, 3, v0
	s_waitcnt lgkmcnt(0)
	s_lshl_b64 s[4:5], s[12:13], 8
	s_add_u32 s8, s8, s14
	s_addc_u32 s9, s9, s15
	v_mov_b32_e32 v6, s9
	v_add_co_u32_e32 v5, vcc, s8, v5
	v_addc_co_u32_e32 v6, vcc, 0, v6, vcc
	s_lshl_b64 s[8:9], s[12:13], 11
	s_mov_b64 s[12:13], 0
	s_branch .LBB0_3
.LBB0_2:                                ;   in Loop: Header=BB0_3 Depth=1
	s_or_b64 exec, exec, s[14:15]
	v_mov_b32_e32 v7, s5
	v_add_co_u32_e32 v1, vcc, s4, v1
	v_addc_co_u32_e32 v2, vcc, v2, v7, vcc
	v_cmp_le_i64_e32 vcc, s[0:1], v[1:2]
	v_mov_b32_e32 v7, s9
	s_or_b64 s[12:13], vcc, s[12:13]
	v_add_co_u32_e32 v5, vcc, s8, v5
	v_addc_co_u32_e32 v6, vcc, v6, v7, vcc
	s_andn2_b64 exec, exec, s[12:13]
	s_cbranch_execz .LBB0_5
.LBB0_3:                                ; =>This Inner Loop Header: Depth=1
	global_load_dwordx2 v[7:8], v[5:6], off
	s_waitcnt vmcnt(0)
	v_cmp_lt_f64_e32 vcc, v[7:8], v[3:4]
	s_and_saveexec_b64 s[14:15], vcc
	s_cbranch_execz .LBB0_2
; %bb.4:                                ;   in Loop: Header=BB0_3 Depth=1
	v_mov_b32_e32 v3, v7
	v_mov_b32_e32 v4, v8
	ds_write2_b64 v9, v[7:8], v[1:2] offset1:1
	s_branch .LBB0_2
.LBB0_5:
	s_or_b64 exec, exec, s[2:3]
	s_movk_i32 s0, 0x80
	v_cmp_gt_u32_e32 vcc, s0, v0
	s_waitcnt lgkmcnt(0)
	s_barrier
	s_and_saveexec_b64 s[0:1], vcc
	s_cbranch_execz .LBB0_8
; %bb.6:
	ds_read2st64_b64 v[1:4], v9 offset1:4
	s_waitcnt lgkmcnt(0)
	v_cmp_lt_f64_e32 vcc, v[3:4], v[1:2]
	s_and_b64 exec, exec, vcc
	s_cbranch_execz .LBB0_8
; %bb.7:
	v_add_u32_e32 v1, 0x800, v9
	ds_read2_b64 v[1:4], v1 offset1:1
	s_waitcnt lgkmcnt(0)
	ds_write2_b64 v9, v[1:2], v[3:4] offset1:1
.LBB0_8:
	s_or_b64 exec, exec, s[0:1]
	v_cmp_gt_u32_e32 vcc, 64, v0
	s_waitcnt lgkmcnt(0)
	s_barrier
	s_and_saveexec_b64 s[0:1], vcc
	s_cbranch_execz .LBB0_11
; %bb.9:
	ds_read2st64_b64 v[1:4], v9 offset1:2
	s_waitcnt lgkmcnt(0)
	v_cmp_lt_f64_e32 vcc, v[3:4], v[1:2]
	s_and_b64 exec, exec, vcc
	s_cbranch_execz .LBB0_11
; %bb.10:
	v_add_u32_e32 v1, 0x400, v9
	ds_read2_b64 v[1:4], v1 offset1:1
	s_waitcnt lgkmcnt(0)
	ds_write2_b64 v9, v[1:2], v[3:4] offset1:1
.LBB0_11:
	s_or_b64 exec, exec, s[0:1]
	;; [unrolled: 18-line block ×3, first 2 shown]
	v_cmp_gt_u32_e32 vcc, 16, v0
	s_waitcnt lgkmcnt(0)
	s_barrier
	s_and_saveexec_b64 s[0:1], vcc
	s_cbranch_execz .LBB0_17
; %bb.15:
	ds_read2_b64 v[1:4], v9 offset1:32
	s_waitcnt lgkmcnt(0)
	v_cmp_lt_f64_e32 vcc, v[3:4], v[1:2]
	s_and_b64 exec, exec, vcc
	s_cbranch_execz .LBB0_17
; %bb.16:
	v_add_u32_e32 v1, 0x100, v9
	ds_read2_b64 v[1:4], v1 offset1:1
	s_waitcnt lgkmcnt(0)
	ds_write2_b64 v9, v[1:2], v[3:4] offset1:1
.LBB0_17:
	s_or_b64 exec, exec, s[0:1]
	v_cmp_gt_u32_e32 vcc, 8, v0
	s_waitcnt lgkmcnt(0)
	s_barrier
	s_and_saveexec_b64 s[0:1], vcc
	s_cbranch_execz .LBB0_20
; %bb.18:
	ds_read2_b64 v[1:4], v9 offset1:16
	s_waitcnt lgkmcnt(0)
	v_cmp_lt_f64_e32 vcc, v[3:4], v[1:2]
	s_and_b64 exec, exec, vcc
	s_cbranch_execz .LBB0_20
; %bb.19:
	v_add_u32_e32 v1, 0x80, v9
	ds_read2_b64 v[1:4], v1 offset1:1
	s_waitcnt lgkmcnt(0)
	ds_write2_b64 v9, v[1:2], v[3:4] offset1:1
.LBB0_20:
	s_or_b64 exec, exec, s[0:1]
	;; [unrolled: 18-line block ×4, first 2 shown]
	v_cmp_eq_u32_e32 vcc, 0, v0
	s_waitcnt lgkmcnt(0)
	s_barrier
	s_and_saveexec_b64 s[2:3], vcc
	s_cbranch_execz .LBB0_29
; %bb.27:
	ds_read2_b64 v[0:3], v9 offset1:2
	s_waitcnt lgkmcnt(0)
	v_cmp_lt_f64_e64 s[0:1], v[2:3], v[0:1]
	s_and_b64 exec, exec, s[0:1]
	s_cbranch_execz .LBB0_29
; %bb.28:
	v_add_u32_e32 v0, 16, v9
	ds_read2_b64 v[0:3], v0 offset1:1
	s_waitcnt lgkmcnt(0)
	ds_write2_b64 v9, v[0:1], v[2:3] offset1:1
.LBB0_29:
	s_or_b64 exec, exec, s[2:3]
	s_waitcnt lgkmcnt(0)
	s_barrier
	s_and_saveexec_b64 s[0:1], vcc
	s_cbranch_execz .LBB0_31
; %bb.30:
	v_mov_b32_e32 v4, 0
	ds_read2_b64 v[0:3], v4 offset1:1
	s_lshl_b64 s[0:1], s[6:7], 4
	s_add_u32 s0, s10, s0
	s_addc_u32 s1, s11, s1
	s_waitcnt lgkmcnt(0)
	global_store_dwordx4 v4, v[0:3], s[0:1]
.LBB0_31:
	s_endpgm
	.section	.rodata,"a",@progbits
	.p2align	6, 0x0
	.amdhsa_kernel _ZN8rajaperf5lcals9first_minILm256EEEvPdP8MyMinLocS3_l
		.amdhsa_group_segment_fixed_size 0
		.amdhsa_private_segment_fixed_size 0
		.amdhsa_kernarg_size 296
		.amdhsa_user_sgpr_count 6
		.amdhsa_user_sgpr_private_segment_buffer 1
		.amdhsa_user_sgpr_dispatch_ptr 0
		.amdhsa_user_sgpr_queue_ptr 0
		.amdhsa_user_sgpr_kernarg_segment_ptr 1
		.amdhsa_user_sgpr_dispatch_id 0
		.amdhsa_user_sgpr_flat_scratch_init 0
		.amdhsa_user_sgpr_private_segment_size 0
		.amdhsa_uses_dynamic_stack 0
		.amdhsa_system_sgpr_private_segment_wavefront_offset 0
		.amdhsa_system_sgpr_workgroup_id_x 1
		.amdhsa_system_sgpr_workgroup_id_y 0
		.amdhsa_system_sgpr_workgroup_id_z 0
		.amdhsa_system_sgpr_workgroup_info 0
		.amdhsa_system_vgpr_workitem_id 0
		.amdhsa_next_free_vgpr 10
		.amdhsa_next_free_sgpr 16
		.amdhsa_reserve_vcc 1
		.amdhsa_reserve_flat_scratch 0
		.amdhsa_float_round_mode_32 0
		.amdhsa_float_round_mode_16_64 0
		.amdhsa_float_denorm_mode_32 3
		.amdhsa_float_denorm_mode_16_64 3
		.amdhsa_dx10_clamp 1
		.amdhsa_ieee_mode 1
		.amdhsa_fp16_overflow 0
		.amdhsa_exception_fp_ieee_invalid_op 0
		.amdhsa_exception_fp_denorm_src 0
		.amdhsa_exception_fp_ieee_div_zero 0
		.amdhsa_exception_fp_ieee_overflow 0
		.amdhsa_exception_fp_ieee_underflow 0
		.amdhsa_exception_fp_ieee_inexact 0
		.amdhsa_exception_int_div_zero 0
	.end_amdhsa_kernel
	.section	.text._ZN8rajaperf5lcals9first_minILm256EEEvPdP8MyMinLocS3_l,"axG",@progbits,_ZN8rajaperf5lcals9first_minILm256EEEvPdP8MyMinLocS3_l,comdat
.Lfunc_end0:
	.size	_ZN8rajaperf5lcals9first_minILm256EEEvPdP8MyMinLocS3_l, .Lfunc_end0-_ZN8rajaperf5lcals9first_minILm256EEEvPdP8MyMinLocS3_l
                                        ; -- End function
	.set _ZN8rajaperf5lcals9first_minILm256EEEvPdP8MyMinLocS3_l.num_vgpr, 10
	.set _ZN8rajaperf5lcals9first_minILm256EEEvPdP8MyMinLocS3_l.num_agpr, 0
	.set _ZN8rajaperf5lcals9first_minILm256EEEvPdP8MyMinLocS3_l.numbered_sgpr, 16
	.set _ZN8rajaperf5lcals9first_minILm256EEEvPdP8MyMinLocS3_l.num_named_barrier, 0
	.set _ZN8rajaperf5lcals9first_minILm256EEEvPdP8MyMinLocS3_l.private_seg_size, 0
	.set _ZN8rajaperf5lcals9first_minILm256EEEvPdP8MyMinLocS3_l.uses_vcc, 1
	.set _ZN8rajaperf5lcals9first_minILm256EEEvPdP8MyMinLocS3_l.uses_flat_scratch, 0
	.set _ZN8rajaperf5lcals9first_minILm256EEEvPdP8MyMinLocS3_l.has_dyn_sized_stack, 0
	.set _ZN8rajaperf5lcals9first_minILm256EEEvPdP8MyMinLocS3_l.has_recursion, 0
	.set _ZN8rajaperf5lcals9first_minILm256EEEvPdP8MyMinLocS3_l.has_indirect_call, 0
	.section	.AMDGPU.csdata,"",@progbits
; Kernel info:
; codeLenInByte = 900
; TotalNumSgprs: 20
; NumVgprs: 10
; ScratchSize: 0
; MemoryBound: 0
; FloatMode: 240
; IeeeMode: 1
; LDSByteSize: 0 bytes/workgroup (compile time only)
; SGPRBlocks: 2
; VGPRBlocks: 2
; NumSGPRsForWavesPerEU: 20
; NumVGPRsForWavesPerEU: 10
; Occupancy: 10
; WaveLimiterHint : 0
; COMPUTE_PGM_RSRC2:SCRATCH_EN: 0
; COMPUTE_PGM_RSRC2:USER_SGPR: 6
; COMPUTE_PGM_RSRC2:TRAP_HANDLER: 0
; COMPUTE_PGM_RSRC2:TGID_X_EN: 1
; COMPUTE_PGM_RSRC2:TGID_Y_EN: 0
; COMPUTE_PGM_RSRC2:TGID_Z_EN: 0
; COMPUTE_PGM_RSRC2:TIDIG_COMP_CNT: 0
	.section	.text._ZN4RAJA6policy3hip4impl18forallp_hip_kernelINS1_8hip_execINS_17iteration_mapping6DirectENS_3hip11IndexGlobalILNS_9named_dimE0ELi256ELi0EEENS7_40AvoidDeviceMaxThreadOccupancyConcretizerINS7_34FractionOffsetOccupancyConcretizerINS_8FractionImLm1ELm1EEELln1EEEEELb1EEENS_9Iterators16numeric_iteratorIllPlEEZN8rajaperf5lcals9FIRST_MIN17runHipVariantRAJAILm256ENSM_11gpu_mapping20global_direct_helperEEEvNSM_9VariantIDEEUllE_lNS_4expt15ForallParamPackIJEEES6_SA_TnNSt9enable_ifIXaasr3std10is_base_ofINS5_10DirectBaseET4_EE5valuegtsrT5_10block_sizeLi0EEmE4typeELm256EEEvT1_T0_T2_T3_,"axG",@progbits,_ZN4RAJA6policy3hip4impl18forallp_hip_kernelINS1_8hip_execINS_17iteration_mapping6DirectENS_3hip11IndexGlobalILNS_9named_dimE0ELi256ELi0EEENS7_40AvoidDeviceMaxThreadOccupancyConcretizerINS7_34FractionOffsetOccupancyConcretizerINS_8FractionImLm1ELm1EEELln1EEEEELb1EEENS_9Iterators16numeric_iteratorIllPlEEZN8rajaperf5lcals9FIRST_MIN17runHipVariantRAJAILm256ENSM_11gpu_mapping20global_direct_helperEEEvNSM_9VariantIDEEUllE_lNS_4expt15ForallParamPackIJEEES6_SA_TnNSt9enable_ifIXaasr3std10is_base_ofINS5_10DirectBaseET4_EE5valuegtsrT5_10block_sizeLi0EEmE4typeELm256EEEvT1_T0_T2_T3_,comdat
	.protected	_ZN4RAJA6policy3hip4impl18forallp_hip_kernelINS1_8hip_execINS_17iteration_mapping6DirectENS_3hip11IndexGlobalILNS_9named_dimE0ELi256ELi0EEENS7_40AvoidDeviceMaxThreadOccupancyConcretizerINS7_34FractionOffsetOccupancyConcretizerINS_8FractionImLm1ELm1EEELln1EEEEELb1EEENS_9Iterators16numeric_iteratorIllPlEEZN8rajaperf5lcals9FIRST_MIN17runHipVariantRAJAILm256ENSM_11gpu_mapping20global_direct_helperEEEvNSM_9VariantIDEEUllE_lNS_4expt15ForallParamPackIJEEES6_SA_TnNSt9enable_ifIXaasr3std10is_base_ofINS5_10DirectBaseET4_EE5valuegtsrT5_10block_sizeLi0EEmE4typeELm256EEEvT1_T0_T2_T3_ ; -- Begin function _ZN4RAJA6policy3hip4impl18forallp_hip_kernelINS1_8hip_execINS_17iteration_mapping6DirectENS_3hip11IndexGlobalILNS_9named_dimE0ELi256ELi0EEENS7_40AvoidDeviceMaxThreadOccupancyConcretizerINS7_34FractionOffsetOccupancyConcretizerINS_8FractionImLm1ELm1EEELln1EEEEELb1EEENS_9Iterators16numeric_iteratorIllPlEEZN8rajaperf5lcals9FIRST_MIN17runHipVariantRAJAILm256ENSM_11gpu_mapping20global_direct_helperEEEvNSM_9VariantIDEEUllE_lNS_4expt15ForallParamPackIJEEES6_SA_TnNSt9enable_ifIXaasr3std10is_base_ofINS5_10DirectBaseET4_EE5valuegtsrT5_10block_sizeLi0EEmE4typeELm256EEEvT1_T0_T2_T3_
	.globl	_ZN4RAJA6policy3hip4impl18forallp_hip_kernelINS1_8hip_execINS_17iteration_mapping6DirectENS_3hip11IndexGlobalILNS_9named_dimE0ELi256ELi0EEENS7_40AvoidDeviceMaxThreadOccupancyConcretizerINS7_34FractionOffsetOccupancyConcretizerINS_8FractionImLm1ELm1EEELln1EEEEELb1EEENS_9Iterators16numeric_iteratorIllPlEEZN8rajaperf5lcals9FIRST_MIN17runHipVariantRAJAILm256ENSM_11gpu_mapping20global_direct_helperEEEvNSM_9VariantIDEEUllE_lNS_4expt15ForallParamPackIJEEES6_SA_TnNSt9enable_ifIXaasr3std10is_base_ofINS5_10DirectBaseET4_EE5valuegtsrT5_10block_sizeLi0EEmE4typeELm256EEEvT1_T0_T2_T3_
	.p2align	8
	.type	_ZN4RAJA6policy3hip4impl18forallp_hip_kernelINS1_8hip_execINS_17iteration_mapping6DirectENS_3hip11IndexGlobalILNS_9named_dimE0ELi256ELi0EEENS7_40AvoidDeviceMaxThreadOccupancyConcretizerINS7_34FractionOffsetOccupancyConcretizerINS_8FractionImLm1ELm1EEELln1EEEEELb1EEENS_9Iterators16numeric_iteratorIllPlEEZN8rajaperf5lcals9FIRST_MIN17runHipVariantRAJAILm256ENSM_11gpu_mapping20global_direct_helperEEEvNSM_9VariantIDEEUllE_lNS_4expt15ForallParamPackIJEEES6_SA_TnNSt9enable_ifIXaasr3std10is_base_ofINS5_10DirectBaseET4_EE5valuegtsrT5_10block_sizeLi0EEmE4typeELm256EEEvT1_T0_T2_T3_,@function
_ZN4RAJA6policy3hip4impl18forallp_hip_kernelINS1_8hip_execINS_17iteration_mapping6DirectENS_3hip11IndexGlobalILNS_9named_dimE0ELi256ELi0EEENS7_40AvoidDeviceMaxThreadOccupancyConcretizerINS7_34FractionOffsetOccupancyConcretizerINS_8FractionImLm1ELm1EEELln1EEEEELb1EEENS_9Iterators16numeric_iteratorIllPlEEZN8rajaperf5lcals9FIRST_MIN17runHipVariantRAJAILm256ENSM_11gpu_mapping20global_direct_helperEEEvNSM_9VariantIDEEUllE_lNS_4expt15ForallParamPackIJEEES6_SA_TnNSt9enable_ifIXaasr3std10is_base_ofINS5_10DirectBaseET4_EE5valuegtsrT5_10block_sizeLi0EEmE4typeELm256EEEvT1_T0_T2_T3_: ; @_ZN4RAJA6policy3hip4impl18forallp_hip_kernelINS1_8hip_execINS_17iteration_mapping6DirectENS_3hip11IndexGlobalILNS_9named_dimE0ELi256ELi0EEENS7_40AvoidDeviceMaxThreadOccupancyConcretizerINS7_34FractionOffsetOccupancyConcretizerINS_8FractionImLm1ELm1EEELln1EEEEELb1EEENS_9Iterators16numeric_iteratorIllPlEEZN8rajaperf5lcals9FIRST_MIN17runHipVariantRAJAILm256ENSM_11gpu_mapping20global_direct_helperEEEvNSM_9VariantIDEEUllE_lNS_4expt15ForallParamPackIJEEES6_SA_TnNSt9enable_ifIXaasr3std10is_base_ofINS5_10DirectBaseET4_EE5valuegtsrT5_10block_sizeLi0EEmE4typeELm256EEEvT1_T0_T2_T3_
; %bb.0:
	s_load_dwordx4 s[24:27], s[4:5], 0x58
	s_load_dwordx4 s[20:23], s[4:5], 0x0
	s_load_dwordx8 s[12:19], s[4:5], 0x20
	s_mov_b32 s0, s7
	s_mov_b32 s7, 0
	s_lshl_b64 s[2:3], s[6:7], 8
	v_or_b32_e32 v8, s2, v0
	v_mov_b32_e32 v9, s3
	s_waitcnt lgkmcnt(0)
	v_cmp_gt_i64_e32 vcc, s[26:27], v[8:9]
	v_mov_b32_e32 v4, s12
	v_mov_b32_e32 v6, s14
	;; [unrolled: 1-line block ×4, first 2 shown]
	s_and_saveexec_b64 s[2:3], vcc
	s_cbranch_execz .LBB1_2
; %bb.1:
	s_load_dwordx2 s[10:11], s[4:5], 0x50
	v_mov_b32_e32 v3, s25
	v_add_co_u32_e32 v6, vcc, s24, v8
	v_addc_co_u32_e32 v7, vcc, v9, v3, vcc
	v_lshlrev_b64 v[3:4], 3, v[6:7]
	s_waitcnt lgkmcnt(0)
	v_mov_b32_e32 v5, s11
	v_add_co_u32_e32 v3, vcc, s10, v3
	v_addc_co_u32_e32 v4, vcc, v5, v4, vcc
	global_load_dwordx2 v[3:4], v[3:4], off
	v_mov_b32_e32 v5, s13
	v_mov_b32_e32 v8, s12
	;; [unrolled: 1-line block ×4, first 2 shown]
	s_waitcnt vmcnt(0)
	v_cmp_gt_f64_e32 vcc, s[12:13], v[3:4]
	v_cndmask_b32_e32 v5, v5, v4, vcc
	v_cndmask_b32_e32 v4, v8, v3, vcc
	;; [unrolled: 1-line block ×4, first 2 shown]
.LBB1_2:
	s_or_b64 exec, exec, s[2:3]
	s_cmp_lg_u64 s[20:21], 0
	s_cbranch_scc0 .LBB1_4
.LBB1_3:
	s_endpgm
.LBB1_4:
	s_load_dwordx2 s[26:27], s[4:5], 0x70
	s_load_dword s1, s[4:5], 0x78
	s_load_dwordx2 s[10:11], s[4:5], 0x40
	s_add_u32 s2, s4, 0x70
	s_addc_u32 s3, s5, 0
	s_waitcnt lgkmcnt(0)
	s_cmp_lt_u32 s6, s26
	s_cselect_b32 s7, 12, 18
	v_mov_b32_e32 v3, 0
	s_add_u32 s2, s2, s7
	global_load_dword v8, v3, s[4:5] offset:126
	s_addc_u32 s3, s3, 0
	global_load_ushort v3, v3, s[2:3]
	v_mbcnt_lo_u32_b32 v9, -1, 0
	v_mbcnt_hi_u32_b32 v23, -1, v9
	s_waitcnt vmcnt(1)
	v_readfirstlane_b32 s2, v8
	s_lshr_b32 s3, s2, 16
	s_and_b32 s2, s2, 0xffff
	s_waitcnt vmcnt(0)
	v_readfirstlane_b32 s4, v3
	s_mul_i32 s2, s2, s4
	v_mul_lo_u32 v2, s2, v2
	s_mul_i32 s4, s2, s3
	s_ashr_i32 s5, s4, 31
	s_and_b32 s2, s4, 63
	v_mul_u32_u24_e32 v1, v1, v3
	s_cmp_lg_u32 s2, 0
	s_cselect_b64 s[20:21], -1, 0
	s_cmp_eq_u32 s2, 0
	v_add3_u32 v24, v1, v0, v2
	s_cbranch_scc1 .LBB1_66
; %bb.5:
	v_and_b32_e32 v14, 64, v23
	v_xor_b32_e32 v0, 1, v24
	v_and_or_b32 v1, v0, 63, v14
	v_lshlrev_b32_e32 v1, 2, v1
	ds_bpermute_b32 v2, v1, v4
	ds_bpermute_b32 v3, v1, v5
	;; [unrolled: 1-line block ×4, first 2 shown]
	v_mov_b32_e32 v11, v5
	v_mov_b32_e32 v9, v7
	v_cmp_gt_i32_e32 vcc, s4, v0
	v_mov_b32_e32 v13, v7
	v_mov_b32_e32 v12, v6
	;; [unrolled: 1-line block ×6, first 2 shown]
	s_and_saveexec_b64 s[2:3], vcc
	s_cbranch_execz .LBB1_7
; %bb.6:
	s_waitcnt lgkmcnt(2)
	v_and_b32_e32 v0, 0xffffff00, v3
	v_or_b32_sdwa v3, v3, v0 dst_sel:DWORD dst_unused:UNUSED_PAD src0_sel:BYTE_0 src1_sel:DWORD
	v_cmp_gt_f64_e32 vcc, v[4:5], v[2:3]
	s_waitcnt lgkmcnt(0)
	v_and_b32_e32 v0, 0xffffff00, v16
	v_or_b32_sdwa v0, v16, v0 dst_sel:DWORD dst_unused:UNUSED_PAD src0_sel:BYTE_0 src1_sel:DWORD
	v_cndmask_b32_e32 v12, v6, v15, vcc
	v_cndmask_b32_e32 v11, v5, v3, vcc
	v_cndmask_b32_e32 v10, v4, v2, vcc
	v_cndmask_b32_e32 v13, v7, v0, vcc
	v_mov_b32_e32 v8, v12
	v_mov_b32_e32 v1, v11
	;; [unrolled: 1-line block ×4, first 2 shown]
.LBB1_7:
	s_or_b64 exec, exec, s[2:3]
	s_waitcnt lgkmcnt(1)
	v_xor_b32_e32 v15, 2, v24
	v_and_or_b32 v2, v15, 63, v14
	s_waitcnt lgkmcnt(0)
	v_lshlrev_b32_e32 v16, 2, v2
	ds_bpermute_b32 v2, v16, v0
	ds_bpermute_b32 v3, v16, v1
	;; [unrolled: 1-line block ×4, first 2 shown]
	v_cmp_gt_i32_e32 vcc, s4, v15
	s_and_saveexec_b64 s[2:3], vcc
	s_cbranch_execz .LBB1_9
; %bb.8:
	s_waitcnt lgkmcnt(2)
	v_and_b32_e32 v0, 0xffffff00, v3
	v_or_b32_sdwa v3, v3, v0 dst_sel:DWORD dst_unused:UNUSED_PAD src0_sel:BYTE_0 src1_sel:DWORD
	v_cmp_gt_f64_e32 vcc, v[10:11], v[2:3]
	s_waitcnt lgkmcnt(0)
	v_and_b32_e32 v0, 0xffffff00, v13
	v_or_b32_sdwa v0, v13, v0 dst_sel:DWORD dst_unused:UNUSED_PAD src0_sel:BYTE_0 src1_sel:DWORD
	v_cndmask_b32_e32 v11, v11, v3, vcc
	v_cndmask_b32_e32 v10, v10, v2, vcc
	;; [unrolled: 1-line block ×4, first 2 shown]
	v_mov_b32_e32 v1, v11
	v_mov_b32_e32 v0, v10
.LBB1_9:
	s_or_b64 exec, exec, s[2:3]
	v_xor_b32_e32 v15, 4, v24
	s_waitcnt lgkmcnt(3)
	v_and_or_b32 v2, v15, 63, v14
	s_waitcnt lgkmcnt(0)
	v_lshlrev_b32_e32 v13, 2, v2
	ds_bpermute_b32 v2, v13, v0
	ds_bpermute_b32 v3, v13, v1
	ds_bpermute_b32 v12, v13, v8
	ds_bpermute_b32 v13, v13, v9
	v_cmp_gt_i32_e32 vcc, s4, v15
	s_and_saveexec_b64 s[2:3], vcc
	s_cbranch_execz .LBB1_11
; %bb.10:
	s_waitcnt lgkmcnt(2)
	v_and_b32_e32 v0, 0xffffff00, v3
	v_or_b32_sdwa v3, v3, v0 dst_sel:DWORD dst_unused:UNUSED_PAD src0_sel:BYTE_0 src1_sel:DWORD
	v_cmp_gt_f64_e32 vcc, v[10:11], v[2:3]
	s_waitcnt lgkmcnt(0)
	v_and_b32_e32 v0, 0xffffff00, v13
	v_or_b32_sdwa v13, v13, v0 dst_sel:DWORD dst_unused:UNUSED_PAD src0_sel:BYTE_0 src1_sel:DWORD
	v_cndmask_b32_e32 v1, v11, v3, vcc
	v_cndmask_b32_e32 v0, v10, v2, vcc
	v_mov_b32_e32 v11, v1
	v_cndmask_b32_e32 v9, v9, v13, vcc
	v_cndmask_b32_e32 v8, v8, v12, vcc
	v_mov_b32_e32 v10, v0
.LBB1_11:
	s_or_b64 exec, exec, s[2:3]
	v_xor_b32_e32 v15, 8, v24
	s_waitcnt lgkmcnt(3)
	v_and_or_b32 v2, v15, 63, v14
	s_waitcnt lgkmcnt(0)
	v_lshlrev_b32_e32 v13, 2, v2
	ds_bpermute_b32 v2, v13, v0
	ds_bpermute_b32 v3, v13, v1
	ds_bpermute_b32 v12, v13, v8
	ds_bpermute_b32 v13, v13, v9
	v_cmp_gt_i32_e32 vcc, s4, v15
	s_and_saveexec_b64 s[2:3], vcc
	s_cbranch_execz .LBB1_13
; %bb.12:
	s_waitcnt lgkmcnt(2)
	v_and_b32_e32 v0, 0xffffff00, v3
	v_or_b32_sdwa v3, v3, v0 dst_sel:DWORD dst_unused:UNUSED_PAD src0_sel:BYTE_0 src1_sel:DWORD
	v_cmp_gt_f64_e32 vcc, v[10:11], v[2:3]
	s_waitcnt lgkmcnt(0)
	v_and_b32_e32 v0, 0xffffff00, v13
	v_or_b32_sdwa v13, v13, v0 dst_sel:DWORD dst_unused:UNUSED_PAD src0_sel:BYTE_0 src1_sel:DWORD
	v_cndmask_b32_e32 v1, v11, v3, vcc
	v_cndmask_b32_e32 v0, v10, v2, vcc
	v_mov_b32_e32 v11, v1
	v_cndmask_b32_e32 v9, v9, v13, vcc
	v_cndmask_b32_e32 v8, v8, v12, vcc
	v_mov_b32_e32 v10, v0
.LBB1_13:
	;; [unrolled: 28-line block ×3, first 2 shown]
	s_or_b64 exec, exec, s[2:3]
	s_waitcnt lgkmcnt(1)
	v_xor_b32_e32 v12, 32, v24
	v_and_or_b32 v2, v12, 63, v14
	v_lshlrev_b32_e32 v3, 2, v2
	ds_bpermute_b32 v0, v3, v0
	ds_bpermute_b32 v1, v3, v1
	;; [unrolled: 1-line block ×4, first 2 shown]
	v_cmp_gt_i32_e32 vcc, s4, v12
	s_and_saveexec_b64 s[2:3], vcc
	s_cbranch_execz .LBB1_17
; %bb.16:
	s_waitcnt lgkmcnt(2)
	v_and_b32_e32 v12, 0xffffff00, v1
	v_or_b32_sdwa v1, v1, v12 dst_sel:DWORD dst_unused:UNUSED_PAD src0_sel:BYTE_0 src1_sel:DWORD
	v_cmp_gt_f64_e32 vcc, v[10:11], v[0:1]
	s_waitcnt lgkmcnt(0)
	v_and_b32_e32 v12, 0xffffff00, v3
	v_or_b32_sdwa v3, v3, v12 dst_sel:DWORD dst_unused:UNUSED_PAD src0_sel:BYTE_0 src1_sel:DWORD
	v_cndmask_b32_e32 v11, v11, v1, vcc
	v_cndmask_b32_e32 v10, v10, v0, vcc
	v_cndmask_b32_e32 v9, v9, v3, vcc
	v_cndmask_b32_e32 v8, v8, v2, vcc
.LBB1_17:
	s_or_b64 exec, exec, s[2:3]
	s_branch .LBB1_19
.LBB1_18:
	s_waitcnt lgkmcnt(3)
	v_and_b32_e32 v0, 64, v23
	v_add_u32_e32 v8, 64, v0
	v_xor_b32_e32 v0, 1, v23
	v_cmp_lt_i32_e32 vcc, v0, v8
	v_cndmask_b32_e32 v0, v23, v0, vcc
	s_waitcnt lgkmcnt(2)
	v_lshlrev_b32_e32 v1, 2, v0
	s_waitcnt lgkmcnt(1)
	ds_bpermute_b32 v2, v1, v5
	ds_bpermute_b32 v0, v1, v4
	s_waitcnt lgkmcnt(2)
	ds_bpermute_b32 v3, v1, v7
	ds_bpermute_b32 v9, v1, v6
	s_waitcnt lgkmcnt(3)
	v_and_b32_e32 v1, 0xffffff00, v2
	v_or_b32_sdwa v1, v2, v1 dst_sel:DWORD dst_unused:UNUSED_PAD src0_sel:BYTE_0 src1_sel:DWORD
	s_waitcnt lgkmcnt(2)
	v_cmp_gt_f64_e32 vcc, v[4:5], v[0:1]
	s_waitcnt lgkmcnt(1)
	v_and_b32_e32 v2, 0xffffff00, v3
	v_or_b32_sdwa v3, v3, v2 dst_sel:DWORD dst_unused:UNUSED_PAD src0_sel:BYTE_0 src1_sel:DWORD
	v_xor_b32_e32 v2, 2, v23
	v_cmp_lt_i32_e64 s[2:3], v2, v8
	v_cndmask_b32_e64 v2, v23, v2, s[2:3]
	v_lshlrev_b32_e32 v10, 2, v2
	v_cndmask_b32_e32 v1, v5, v1, vcc
	ds_bpermute_b32 v11, v10, v1
	v_cndmask_b32_e32 v0, v4, v0, vcc
	ds_bpermute_b32 v2, v10, v0
	;; [unrolled: 2-line block ×3, first 2 shown]
	s_waitcnt lgkmcnt(2)
	v_and_b32_e32 v3, 0xffffff00, v11
	v_or_b32_sdwa v3, v11, v3 dst_sel:DWORD dst_unused:UNUSED_PAD src0_sel:BYTE_0 src1_sel:DWORD
	s_waitcnt lgkmcnt(1)
	v_cmp_gt_f64_e64 s[2:3], v[0:1], v[2:3]
	v_cndmask_b32_e32 v9, v6, v9, vcc
	s_waitcnt lgkmcnt(0)
	v_and_b32_e32 v11, 0xffffff00, v13
	ds_bpermute_b32 v10, v10, v9
	v_cndmask_b32_e64 v0, v0, v2, s[2:3]
	v_xor_b32_e32 v2, 4, v23
	v_cmp_lt_i32_e32 vcc, v2, v8
	v_cndmask_b32_e64 v1, v1, v3, s[2:3]
	v_or_b32_sdwa v3, v13, v11 dst_sel:DWORD dst_unused:UNUSED_PAD src0_sel:BYTE_0 src1_sel:DWORD
	v_cndmask_b32_e32 v2, v23, v2, vcc
	v_cndmask_b32_e64 v11, v12, v3, s[2:3]
	v_lshlrev_b32_e32 v3, 2, v2
	ds_bpermute_b32 v12, v3, v1
	ds_bpermute_b32 v2, v3, v0
	s_waitcnt lgkmcnt(2)
	v_cndmask_b32_e64 v9, v9, v10, s[2:3]
	ds_bpermute_b32 v10, v3, v11
	ds_bpermute_b32 v13, v3, v9
	s_waitcnt lgkmcnt(3)
	v_and_b32_e32 v3, 0xffffff00, v12
	v_or_b32_sdwa v3, v12, v3 dst_sel:DWORD dst_unused:UNUSED_PAD src0_sel:BYTE_0 src1_sel:DWORD
	s_waitcnt lgkmcnt(2)
	v_cmp_gt_f64_e32 vcc, v[0:1], v[2:3]
	s_waitcnt lgkmcnt(1)
	v_and_b32_e32 v12, 0xffffff00, v10
	v_or_b32_sdwa v10, v10, v12 dst_sel:DWORD dst_unused:UNUSED_PAD src0_sel:BYTE_0 src1_sel:DWORD
	v_cndmask_b32_e32 v1, v1, v3, vcc
	v_xor_b32_e32 v3, 8, v23
	v_cmp_lt_i32_e64 s[2:3], v3, v8
	v_cndmask_b32_e64 v3, v23, v3, s[2:3]
	v_lshlrev_b32_e32 v12, 2, v3
	ds_bpermute_b32 v3, v12, v1
	v_cndmask_b32_e32 v0, v0, v2, vcc
	ds_bpermute_b32 v2, v12, v0
	v_cndmask_b32_e32 v10, v11, v10, vcc
	ds_bpermute_b32 v11, v12, v10
	s_waitcnt lgkmcnt(2)
	v_and_b32_e32 v14, 0xffffff00, v3
	v_or_b32_sdwa v3, v3, v14 dst_sel:DWORD dst_unused:UNUSED_PAD src0_sel:BYTE_0 src1_sel:DWORD
	s_waitcnt lgkmcnt(1)
	v_cmp_gt_f64_e64 s[2:3], v[0:1], v[2:3]
	v_cndmask_b32_e32 v9, v9, v13, vcc
	s_waitcnt lgkmcnt(0)
	v_and_b32_e32 v13, 0xffffff00, v11
	ds_bpermute_b32 v12, v12, v9
	v_or_b32_sdwa v11, v11, v13 dst_sel:DWORD dst_unused:UNUSED_PAD src0_sel:BYTE_0 src1_sel:DWORD
	v_cndmask_b32_e64 v0, v0, v2, s[2:3]
	v_xor_b32_e32 v2, 16, v23
	v_cmp_lt_i32_e32 vcc, v2, v8
	v_cndmask_b32_e32 v2, v23, v2, vcc
	v_cndmask_b32_e64 v1, v1, v3, s[2:3]
	v_lshlrev_b32_e32 v3, 2, v2
	v_cndmask_b32_e64 v10, v10, v11, s[2:3]
	ds_bpermute_b32 v11, v3, v1
	ds_bpermute_b32 v2, v3, v0
	s_waitcnt lgkmcnt(2)
	v_cndmask_b32_e64 v9, v9, v12, s[2:3]
	ds_bpermute_b32 v12, v3, v10
	ds_bpermute_b32 v13, v3, v9
	s_waitcnt lgkmcnt(3)
	v_and_b32_e32 v3, 0xffffff00, v11
	v_or_b32_sdwa v3, v11, v3 dst_sel:DWORD dst_unused:UNUSED_PAD src0_sel:BYTE_0 src1_sel:DWORD
	s_waitcnt lgkmcnt(2)
	v_cmp_gt_f64_e32 vcc, v[0:1], v[2:3]
	s_waitcnt lgkmcnt(1)
	v_and_b32_e32 v11, 0xffffff00, v12
	v_or_b32_sdwa v11, v12, v11 dst_sel:DWORD dst_unused:UNUSED_PAD src0_sel:BYTE_0 src1_sel:DWORD
	v_cndmask_b32_e32 v1, v1, v3, vcc
	v_xor_b32_e32 v3, 32, v23
	v_cmp_lt_i32_e64 s[2:3], v3, v8
	v_cndmask_b32_e64 v3, v23, v3, s[2:3]
	v_lshlrev_b32_e32 v8, 2, v3
	ds_bpermute_b32 v3, v8, v1
	v_cndmask_b32_e32 v0, v0, v2, vcc
	ds_bpermute_b32 v2, v8, v0
	v_cndmask_b32_e32 v12, v10, v11, vcc
	ds_bpermute_b32 v10, v8, v12
	s_waitcnt lgkmcnt(2)
	v_and_b32_e32 v11, 0xffffff00, v3
	v_or_b32_sdwa v3, v3, v11 dst_sel:DWORD dst_unused:UNUSED_PAD src0_sel:BYTE_0 src1_sel:DWORD
	s_waitcnt lgkmcnt(1)
	v_cmp_gt_f64_e64 s[2:3], v[0:1], v[2:3]
	v_cndmask_b32_e32 v13, v9, v13, vcc
	ds_bpermute_b32 v8, v8, v13
	s_waitcnt lgkmcnt(1)
	v_and_b32_e32 v9, 0xffffff00, v10
	v_or_b32_sdwa v9, v10, v9 dst_sel:DWORD dst_unused:UNUSED_PAD src0_sel:BYTE_0 src1_sel:DWORD
	v_cndmask_b32_e64 v11, v1, v3, s[2:3]
	v_cndmask_b32_e64 v10, v0, v2, s[2:3]
	v_cndmask_b32_e64 v9, v12, v9, s[2:3]
	s_waitcnt lgkmcnt(0)
	v_cndmask_b32_e64 v8, v13, v8, s[2:3]
.LBB1_19:
	v_ashrrev_i32_e32 v25, 31, v24
	s_waitcnt lgkmcnt(3)
	v_lshrrev_b32_e32 v0, 26, v25
	v_add_u32_e32 v0, v24, v0
	v_ashrrev_i32_e32 v26, 6, v0
	v_and_b32_e32 v0, 0xffffffc0, v0
	v_sub_u32_e32 v12, v24, v0
	s_cmp_gt_i32 s4, 64
	s_cselect_b64 s[24:25], -1, 0
	s_cmpk_lt_i32 s4, 0x41
	v_ashrrev_i32_e32 v13, 31, v12
	s_cbranch_scc1 .LBB1_27
; %bb.20:
	v_cmp_eq_u32_e32 vcc, 0, v12
	s_and_saveexec_b64 s[2:3], vcc
; %bb.21:
	v_lshlrev_b32_e32 v0, 3, v26
	ds_write2_b64 v0, v[10:11], v[8:9] offset1:16
; %bb.22:
	s_or_b64 exec, exec, s[2:3]
	v_add_co_u32_e32 v0, vcc, 63, v24
	s_waitcnt lgkmcnt(2)
	v_addc_co_u32_e32 v1, vcc, 0, v25, vcc
	s_mov_b64 s[2:3], 0x7f
	v_cmp_gt_u64_e32 vcc, s[2:3], v[0:1]
	s_waitcnt lgkmcnt(0)
	s_barrier
	s_and_saveexec_b64 s[28:29], vcc
	s_cbranch_execz .LBB1_26
; %bb.23:
	v_lshlrev_b64 v[0:1], 6, v[12:13]
	v_mov_b32_e32 v2, s14
	v_cmp_gt_i64_e32 vcc, s[4:5], v[0:1]
	v_mov_b32_e32 v0, s12
	v_mov_b32_e32 v1, s13
	;; [unrolled: 1-line block ×3, first 2 shown]
	s_and_saveexec_b64 s[2:3], vcc
; %bb.24:
	v_lshlrev_b32_e32 v0, 3, v12
	ds_read2_b64 v[0:3], v0 offset1:16
; %bb.25:
	s_or_b64 exec, exec, s[2:3]
	v_and_b32_e32 v8, 64, v23
	v_add_u32_e32 v10, 64, v8
	v_xor_b32_e32 v8, 1, v23
	v_cmp_lt_i32_e32 vcc, v8, v10
	v_cndmask_b32_e32 v8, v23, v8, vcc
	v_lshlrev_b32_e32 v9, 2, v8
	s_waitcnt lgkmcnt(0)
	ds_bpermute_b32 v11, v9, v1
	ds_bpermute_b32 v8, v9, v0
	;; [unrolled: 1-line block ×4, first 2 shown]
	s_waitcnt lgkmcnt(3)
	v_and_b32_e32 v9, 0xffffff00, v11
	v_or_b32_sdwa v9, v11, v9 dst_sel:DWORD dst_unused:UNUSED_PAD src0_sel:BYTE_0 src1_sel:DWORD
	s_waitcnt lgkmcnt(2)
	v_cmp_gt_f64_e32 vcc, v[0:1], v[8:9]
	s_waitcnt lgkmcnt(1)
	v_and_b32_e32 v11, 0xffffff00, v14
	v_or_b32_sdwa v11, v14, v11 dst_sel:DWORD dst_unused:UNUSED_PAD src0_sel:BYTE_0 src1_sel:DWORD
	v_cndmask_b32_e32 v1, v1, v9, vcc
	v_xor_b32_e32 v9, 2, v23
	v_cmp_lt_i32_e64 s[2:3], v9, v10
	v_cndmask_b32_e64 v9, v23, v9, s[2:3]
	v_lshlrev_b32_e32 v14, 2, v9
	ds_bpermute_b32 v9, v14, v1
	v_cndmask_b32_e32 v0, v0, v8, vcc
	ds_bpermute_b32 v8, v14, v0
	v_cndmask_b32_e32 v3, v3, v11, vcc
	ds_bpermute_b32 v11, v14, v3
	s_waitcnt lgkmcnt(2)
	v_and_b32_e32 v16, 0xffffff00, v9
	v_or_b32_sdwa v9, v9, v16 dst_sel:DWORD dst_unused:UNUSED_PAD src0_sel:BYTE_0 src1_sel:DWORD
	s_waitcnt lgkmcnt(1)
	v_cmp_gt_f64_e64 s[2:3], v[0:1], v[8:9]
	v_cndmask_b32_e32 v2, v2, v15, vcc
	s_waitcnt lgkmcnt(0)
	v_and_b32_e32 v15, 0xffffff00, v11
	ds_bpermute_b32 v14, v14, v2
	v_cndmask_b32_e64 v1, v1, v9, s[2:3]
	v_or_b32_sdwa v9, v11, v15 dst_sel:DWORD dst_unused:UNUSED_PAD src0_sel:BYTE_0 src1_sel:DWORD
	v_cndmask_b32_e64 v0, v0, v8, s[2:3]
	v_cndmask_b32_e64 v8, v3, v9, s[2:3]
	v_xor_b32_e32 v3, 4, v23
	v_cmp_lt_i32_e32 vcc, v3, v10
	v_cndmask_b32_e32 v3, v23, v3, vcc
	v_lshlrev_b32_e32 v3, 2, v3
	ds_bpermute_b32 v9, v3, v1
	s_waitcnt lgkmcnt(1)
	v_cndmask_b32_e64 v11, v2, v14, s[2:3]
	ds_bpermute_b32 v2, v3, v0
	ds_bpermute_b32 v14, v3, v8
	;; [unrolled: 1-line block ×3, first 2 shown]
	s_waitcnt lgkmcnt(3)
	v_and_b32_e32 v3, 0xffffff00, v9
	v_or_b32_sdwa v3, v9, v3 dst_sel:DWORD dst_unused:UNUSED_PAD src0_sel:BYTE_0 src1_sel:DWORD
	s_waitcnt lgkmcnt(2)
	v_cmp_gt_f64_e32 vcc, v[0:1], v[2:3]
	s_waitcnt lgkmcnt(1)
	v_and_b32_e32 v9, 0xffffff00, v14
	v_or_b32_sdwa v9, v14, v9 dst_sel:DWORD dst_unused:UNUSED_PAD src0_sel:BYTE_0 src1_sel:DWORD
	v_cndmask_b32_e32 v1, v1, v3, vcc
	v_xor_b32_e32 v3, 8, v23
	v_cmp_lt_i32_e64 s[2:3], v3, v10
	v_cndmask_b32_e64 v3, v23, v3, s[2:3]
	v_lshlrev_b32_e32 v10, 2, v3
	ds_bpermute_b32 v3, v10, v1
	v_cndmask_b32_e32 v0, v0, v2, vcc
	ds_bpermute_b32 v2, v10, v0
	v_cndmask_b32_e32 v8, v8, v9, vcc
	ds_bpermute_b32 v9, v10, v8
	s_waitcnt lgkmcnt(2)
	v_and_b32_e32 v14, 0xffffff00, v3
	v_or_b32_sdwa v3, v3, v14 dst_sel:DWORD dst_unused:UNUSED_PAD src0_sel:BYTE_0 src1_sel:DWORD
	s_waitcnt lgkmcnt(1)
	v_cmp_gt_f64_e64 s[2:3], v[0:1], v[2:3]
	v_cndmask_b32_e32 v14, v11, v15, vcc
	ds_bpermute_b32 v15, v10, v14
	s_waitcnt lgkmcnt(1)
	v_and_b32_e32 v10, 0xffffff00, v9
	v_or_b32_sdwa v9, v9, v10 dst_sel:DWORD dst_unused:UNUSED_PAD src0_sel:BYTE_0 src1_sel:DWORD
	v_cndmask_b32_e64 v11, v1, v3, s[2:3]
	v_cndmask_b32_e64 v10, v0, v2, s[2:3]
	;; [unrolled: 1-line block ×3, first 2 shown]
	s_waitcnt lgkmcnt(0)
	v_cndmask_b32_e64 v8, v14, v15, s[2:3]
.LBB1_26:
	s_or_b64 exec, exec, s[28:29]
	s_barrier
.LBB1_27:
	s_mul_i32 s0, s26, s0
	s_mul_i32 s2, s27, s26
	s_add_i32 s0, s0, s6
	s_mul_i32 s3, s2, s8
	s_add_i32 s0, s0, s3
	s_mul_i32 s2, s1, s2
	s_ashr_i32 s1, s0, 31
	s_lshr_b32 s1, s1, 27
	s_add_i32 s6, s0, s1
	s_and_b32 s1, s6, 0xffffffe0
	s_sub_i32 s26, s0, s1
	s_ashr_i32 s0, s2, 31
	s_lshr_b32 s0, s0, 27
	s_add_i32 s0, s2, s0
	s_ashr_i32 s3, s0, 5
	s_andn2_b32 s0, s0, 31
	s_sub_i32 s0, s2, s0
	s_cmp_lt_i32 s26, s0
	s_cselect_b64 s[0:1], -1, 0
	s_cmp_lg_u64 s[0:1], 0
	s_addc_u32 s27, s3, 0
	s_cmp_gt_u32 s27, 1
	v_cmp_eq_u32_e64 s[0:1], 0, v24
	s_cbranch_scc0 .LBB1_60
; %bb.28:
	s_add_i32 s2, s2, 31
	s_ashr_i32 s3, s2, 31
	s_lshr_b32 s3, s3, 27
	s_add_i32 s2, s2, s3
	s_ashr_i32 s28, s2, 5
	s_mul_i32 s28, s28, s26
	s_and_saveexec_b64 s[2:3], s[0:1]
	s_cbranch_execz .LBB1_30
; %bb.29:
	s_ashr_i32 s7, s6, 5
	s_add_i32 s8, s28, s7
	s_ashr_i32 s9, s8, 31
	s_lshl_b32 s6, s26, 2
	s_lshl_b64 s[8:9], s[8:9], 3
	s_add_u32 s30, s18, s8
	s_addc_u32 s31, s19, s9
	s_add_u32 s8, s10, s8
	s_addc_u32 s9, s11, s9
	s_ashr_i32 s7, s6, 31
	s_lshl_b64 s[6:7], s[6:7], 2
	v_mov_b32_e32 v0, 0
	s_add_u32 s6, s16, s6
	global_store_dwordx2 v0, v[10:11], s[30:31]
	global_store_dwordx2 v0, v[8:9], s[8:9]
	s_addc_u32 s7, s17, s7
	s_add_i32 s8, s27, -1
	s_waitcnt lgkmcnt(2)
	v_mov_b32_e32 v1, s8
	s_waitcnt vmcnt(0) lgkmcnt(0)
	global_atomic_inc v1, v0, v1, s[6:7] glc
	s_waitcnt vmcnt(0)
	v_cmp_eq_u32_e32 vcc, s8, v1
	v_cndmask_b32_e64 v1, 0, 1, vcc
	ds_write_b8 v0, v1 offset:256
.LBB1_30:
	s_or_b64 exec, exec, s[2:3]
	v_mov_b32_e32 v0, 0
	s_waitcnt lgkmcnt(0)
	s_barrier
	ds_read_u8 v0, v0 offset:256
	v_mov_b32_e32 v2, v6
	s_mov_b64 s[2:3], 0
	v_mov_b32_e32 v3, v7
	s_waitcnt lgkmcnt(0)
	v_and_b32_e32 v0, 1, v0
	v_cmp_eq_u32_e32 vcc, 0, v0
	v_mov_b32_e32 v0, v4
	v_mov_b32_e32 v1, v5
	s_cbranch_vccnz .LBB1_59
; %bb.31:
	v_mov_b32_e32 v2, s12
	v_mov_b32_e32 v0, s14
	v_cmp_gt_u32_e32 vcc, s27, v24
	v_mov_b32_e32 v3, s13
	v_mov_b32_e32 v1, s15
	s_and_saveexec_b64 s[6:7], vcc
	s_cbranch_execz .LBB1_35
; %bb.32:
	v_mov_b32_e32 v2, s12
	v_mov_b32_e32 v0, s14
	s_mov_b64 s[8:9], 0
	v_mov_b32_e32 v3, s13
	v_mov_b32_e32 v1, s15
	v_mov_b32_e32 v15, 0
	v_mov_b32_e32 v16, s19
	v_mov_b32_e32 v17, s11
	v_mov_b32_e32 v18, v24
.LBB1_33:                               ; =>This Inner Loop Header: Depth=1
	v_add_u32_e32 v14, s28, v18
	v_lshlrev_b64 v[19:20], 3, v[14:15]
	v_add_u32_e32 v18, s4, v18
	v_add_co_u32_e32 v21, vcc, s18, v19
	v_addc_co_u32_e32 v22, vcc, v16, v20, vcc
	global_load_dwordx2 v[21:22], v[21:22], off glc
	v_add_co_u32_e32 v19, vcc, s10, v19
	v_addc_co_u32_e32 v20, vcc, v17, v20, vcc
	global_load_dwordx2 v[19:20], v[19:20], off glc
	v_cmp_le_u32_e64 s[2:3], s27, v18
	s_or_b64 s[8:9], s[2:3], s[8:9]
	s_waitcnt vmcnt(1)
	v_cmp_gt_f64_e32 vcc, v[2:3], v[21:22]
	v_cndmask_b32_e32 v3, v3, v22, vcc
	v_cndmask_b32_e32 v2, v2, v21, vcc
	s_waitcnt vmcnt(0)
	v_cndmask_b32_e32 v1, v1, v20, vcc
	v_cndmask_b32_e32 v0, v0, v19, vcc
	s_andn2_b64 exec, exec, s[8:9]
	s_cbranch_execnz .LBB1_33
; %bb.34:
	s_or_b64 exec, exec, s[8:9]
.LBB1_35:
	s_or_b64 exec, exec, s[6:7]
	s_andn2_b64 vcc, exec, s[20:21]
	s_cbranch_vccnz .LBB1_67
; %bb.36:
	v_and_b32_e32 v27, 64, v23
	v_xor_b32_e32 v14, 1, v24
	v_and_or_b32 v15, v14, 63, v27
	v_lshlrev_b32_e32 v15, 2, v15
	ds_bpermute_b32 v20, v15, v2
	ds_bpermute_b32 v30, v15, v3
	ds_bpermute_b32 v28, v15, v0
	ds_bpermute_b32 v29, v15, v1
	v_cmp_gt_i32_e32 vcc, s4, v14
	v_mov_b32_e32 v17, v3
	v_mov_b32_e32 v15, v1
	;; [unrolled: 1-line block ×8, first 2 shown]
	s_and_saveexec_b64 s[2:3], vcc
	s_cbranch_execz .LBB1_38
; %bb.37:
	s_waitcnt lgkmcnt(2)
	v_and_b32_e32 v14, 0xffffff00, v30
	v_or_b32_sdwa v21, v30, v14 dst_sel:DWORD dst_unused:UNUSED_PAD src0_sel:BYTE_0 src1_sel:DWORD
	v_cmp_gt_f64_e32 vcc, v[2:3], v[20:21]
	s_waitcnt lgkmcnt(0)
	v_and_b32_e32 v14, 0xffffff00, v29
	v_or_b32_sdwa v14, v29, v14 dst_sel:DWORD dst_unused:UNUSED_PAD src0_sel:BYTE_0 src1_sel:DWORD
	v_cndmask_b32_e32 v17, v3, v21, vcc
	v_cndmask_b32_e32 v21, v0, v28, vcc
	;; [unrolled: 1-line block ×4, first 2 shown]
	v_mov_b32_e32 v14, v21
	v_mov_b32_e32 v19, v17
	v_mov_b32_e32 v15, v22
	v_mov_b32_e32 v18, v16
.LBB1_38:
	s_or_b64 exec, exec, s[2:3]
	s_waitcnt lgkmcnt(2)
	v_xor_b32_e32 v30, 2, v24
	v_and_or_b32 v20, v30, 63, v27
	v_lshlrev_b32_e32 v31, 2, v20
	ds_bpermute_b32 v20, v31, v18
	s_waitcnt lgkmcnt(1)
	ds_bpermute_b32 v29, v31, v19
	ds_bpermute_b32 v28, v31, v21
	ds_bpermute_b32 v22, v31, v22
	v_cmp_gt_i32_e32 vcc, s4, v30
	s_and_saveexec_b64 s[2:3], vcc
	s_cbranch_execz .LBB1_40
; %bb.39:
	s_waitcnt lgkmcnt(2)
	v_and_b32_e32 v18, 0xffffff00, v29
	v_or_b32_sdwa v21, v29, v18 dst_sel:DWORD dst_unused:UNUSED_PAD src0_sel:BYTE_0 src1_sel:DWORD
	v_cmp_gt_f64_e32 vcc, v[16:17], v[20:21]
	s_waitcnt lgkmcnt(0)
	v_and_b32_e32 v18, 0xffffff00, v22
	v_or_b32_sdwa v18, v22, v18 dst_sel:DWORD dst_unused:UNUSED_PAD src0_sel:BYTE_0 src1_sel:DWORD
	v_cndmask_b32_e32 v17, v17, v21, vcc
	v_cndmask_b32_e32 v16, v16, v20, vcc
	;; [unrolled: 1-line block ×4, first 2 shown]
	v_mov_b32_e32 v19, v17
	v_mov_b32_e32 v18, v16
.LBB1_40:
	s_or_b64 exec, exec, s[2:3]
	s_waitcnt lgkmcnt(2)
	v_xor_b32_e32 v29, 4, v24
	v_and_or_b32 v20, v29, 63, v27
	s_waitcnt lgkmcnt(1)
	v_lshlrev_b32_e32 v28, 2, v20
	ds_bpermute_b32 v20, v28, v18
	ds_bpermute_b32 v21, v28, v19
	s_waitcnt lgkmcnt(2)
	ds_bpermute_b32 v22, v28, v14
	ds_bpermute_b32 v28, v28, v15
	v_cmp_gt_i32_e32 vcc, s4, v29
	s_and_saveexec_b64 s[2:3], vcc
	s_cbranch_execz .LBB1_42
; %bb.41:
	s_waitcnt lgkmcnt(2)
	v_and_b32_e32 v18, 0xffffff00, v21
	v_or_b32_sdwa v21, v21, v18 dst_sel:DWORD dst_unused:UNUSED_PAD src0_sel:BYTE_0 src1_sel:DWORD
	v_cmp_gt_f64_e32 vcc, v[16:17], v[20:21]
	s_waitcnt lgkmcnt(0)
	v_and_b32_e32 v18, 0xffffff00, v28
	v_or_b32_sdwa v28, v28, v18 dst_sel:DWORD dst_unused:UNUSED_PAD src0_sel:BYTE_0 src1_sel:DWORD
	v_cndmask_b32_e32 v18, v16, v20, vcc
	v_cndmask_b32_e32 v19, v17, v21, vcc
	v_mov_b32_e32 v16, v18
	v_cndmask_b32_e32 v15, v15, v28, vcc
	v_cndmask_b32_e32 v14, v14, v22, vcc
	v_mov_b32_e32 v17, v19
.LBB1_42:
	s_or_b64 exec, exec, s[2:3]
	v_xor_b32_e32 v29, 8, v24
	s_waitcnt lgkmcnt(3)
	v_and_or_b32 v20, v29, 63, v27
	s_waitcnt lgkmcnt(0)
	v_lshlrev_b32_e32 v28, 2, v20
	ds_bpermute_b32 v20, v28, v18
	ds_bpermute_b32 v21, v28, v19
	;; [unrolled: 1-line block ×4, first 2 shown]
	v_cmp_gt_i32_e32 vcc, s4, v29
	s_and_saveexec_b64 s[2:3], vcc
	s_cbranch_execz .LBB1_44
; %bb.43:
	s_waitcnt lgkmcnt(2)
	v_and_b32_e32 v18, 0xffffff00, v21
	v_or_b32_sdwa v21, v21, v18 dst_sel:DWORD dst_unused:UNUSED_PAD src0_sel:BYTE_0 src1_sel:DWORD
	v_cmp_gt_f64_e32 vcc, v[16:17], v[20:21]
	s_waitcnt lgkmcnt(0)
	v_and_b32_e32 v18, 0xffffff00, v28
	v_or_b32_sdwa v28, v28, v18 dst_sel:DWORD dst_unused:UNUSED_PAD src0_sel:BYTE_0 src1_sel:DWORD
	v_cndmask_b32_e32 v18, v16, v20, vcc
	v_cndmask_b32_e32 v19, v17, v21, vcc
	v_mov_b32_e32 v16, v18
	v_cndmask_b32_e32 v15, v15, v28, vcc
	v_cndmask_b32_e32 v14, v14, v22, vcc
	v_mov_b32_e32 v17, v19
.LBB1_44:
	s_or_b64 exec, exec, s[2:3]
	v_xor_b32_e32 v29, 16, v24
	s_waitcnt lgkmcnt(3)
	v_and_or_b32 v20, v29, 63, v27
	s_waitcnt lgkmcnt(0)
	v_lshlrev_b32_e32 v28, 2, v20
	ds_bpermute_b32 v20, v28, v18
	ds_bpermute_b32 v21, v28, v19
	;; [unrolled: 1-line block ×4, first 2 shown]
	v_cmp_gt_i32_e32 vcc, s4, v29
	s_and_saveexec_b64 s[2:3], vcc
	s_cbranch_execz .LBB1_46
; %bb.45:
	s_waitcnt lgkmcnt(2)
	v_and_b32_e32 v18, 0xffffff00, v21
	v_or_b32_sdwa v21, v21, v18 dst_sel:DWORD dst_unused:UNUSED_PAD src0_sel:BYTE_0 src1_sel:DWORD
	v_cmp_gt_f64_e32 vcc, v[16:17], v[20:21]
	s_waitcnt lgkmcnt(0)
	v_and_b32_e32 v18, 0xffffff00, v28
	v_or_b32_sdwa v28, v28, v18 dst_sel:DWORD dst_unused:UNUSED_PAD src0_sel:BYTE_0 src1_sel:DWORD
	v_cndmask_b32_e32 v18, v16, v20, vcc
	v_cndmask_b32_e32 v19, v17, v21, vcc
	v_mov_b32_e32 v16, v18
	v_cndmask_b32_e32 v15, v15, v28, vcc
	v_cndmask_b32_e32 v14, v14, v22, vcc
	v_mov_b32_e32 v17, v19
.LBB1_46:
	s_or_b64 exec, exec, s[2:3]
	s_waitcnt lgkmcnt(1)
	v_xor_b32_e32 v22, 32, v24
	v_and_or_b32 v20, v22, 63, v27
	v_lshlrev_b32_e32 v21, 2, v20
	ds_bpermute_b32 v18, v21, v18
	ds_bpermute_b32 v19, v21, v19
	;; [unrolled: 1-line block ×4, first 2 shown]
	v_cmp_gt_i32_e32 vcc, s4, v22
	s_and_saveexec_b64 s[2:3], vcc
	s_cbranch_execz .LBB1_48
; %bb.47:
	s_waitcnt lgkmcnt(2)
	v_and_b32_e32 v22, 0xffffff00, v19
	v_or_b32_sdwa v19, v19, v22 dst_sel:DWORD dst_unused:UNUSED_PAD src0_sel:BYTE_0 src1_sel:DWORD
	v_cmp_gt_f64_e32 vcc, v[16:17], v[18:19]
	s_waitcnt lgkmcnt(0)
	v_and_b32_e32 v22, 0xffffff00, v21
	v_or_b32_sdwa v21, v21, v22 dst_sel:DWORD dst_unused:UNUSED_PAD src0_sel:BYTE_0 src1_sel:DWORD
	v_cndmask_b32_e32 v17, v17, v19, vcc
	v_cndmask_b32_e32 v16, v16, v18, vcc
	;; [unrolled: 1-line block ×4, first 2 shown]
.LBB1_48:
	s_or_b64 exec, exec, s[2:3]
	s_branch .LBB1_50
.LBB1_49:
	v_and_b32_e32 v14, 64, v23
	v_add_u32_e32 v16, 64, v14
	v_xor_b32_e32 v14, 1, v23
	v_cmp_lt_i32_e32 vcc, v14, v16
	v_cndmask_b32_e32 v14, v23, v14, vcc
	v_lshlrev_b32_e32 v15, 2, v14
	ds_bpermute_b32 v17, v15, v3
	ds_bpermute_b32 v14, v15, v2
	s_waitcnt lgkmcnt(5)
	ds_bpermute_b32 v18, v15, v1
	s_waitcnt lgkmcnt(5)
	ds_bpermute_b32 v19, v15, v0
	s_waitcnt lgkmcnt(3)
	v_and_b32_e32 v15, 0xffffff00, v17
	v_or_b32_sdwa v15, v17, v15 dst_sel:DWORD dst_unused:UNUSED_PAD src0_sel:BYTE_0 src1_sel:DWORD
	s_waitcnt lgkmcnt(2)
	v_cmp_gt_f64_e32 vcc, v[2:3], v[14:15]
	s_waitcnt lgkmcnt(1)
	v_and_b32_e32 v17, 0xffffff00, v18
	v_or_b32_sdwa v17, v18, v17 dst_sel:DWORD dst_unused:UNUSED_PAD src0_sel:BYTE_0 src1_sel:DWORD
	v_cndmask_b32_e32 v3, v3, v15, vcc
	v_xor_b32_e32 v15, 2, v23
	v_cmp_lt_i32_e64 s[2:3], v15, v16
	v_cndmask_b32_e64 v15, v23, v15, s[2:3]
	v_lshlrev_b32_e32 v18, 2, v15
	ds_bpermute_b32 v15, v18, v3
	v_cndmask_b32_e32 v2, v2, v14, vcc
	ds_bpermute_b32 v14, v18, v2
	v_cndmask_b32_e32 v17, v1, v17, vcc
	ds_bpermute_b32 v20, v18, v17
	s_waitcnt lgkmcnt(2)
	v_and_b32_e32 v1, 0xffffff00, v15
	v_or_b32_sdwa v15, v15, v1 dst_sel:DWORD dst_unused:UNUSED_PAD src0_sel:BYTE_0 src1_sel:DWORD
	s_waitcnt lgkmcnt(1)
	v_cmp_gt_f64_e64 s[2:3], v[2:3], v[14:15]
	v_cndmask_b32_e32 v19, v0, v19, vcc
	s_waitcnt lgkmcnt(0)
	v_and_b32_e32 v0, 0xffffff00, v20
	ds_bpermute_b32 v18, v18, v19
	v_cndmask_b32_e64 v1, v3, v15, s[2:3]
	v_or_b32_sdwa v3, v20, v0 dst_sel:DWORD dst_unused:UNUSED_PAD src0_sel:BYTE_0 src1_sel:DWORD
	v_cndmask_b32_e64 v0, v2, v14, s[2:3]
	v_xor_b32_e32 v2, 4, v23
	v_cmp_lt_i32_e32 vcc, v2, v16
	v_cndmask_b32_e32 v2, v23, v2, vcc
	v_cndmask_b32_e64 v14, v17, v3, s[2:3]
	v_lshlrev_b32_e32 v3, 2, v2
	ds_bpermute_b32 v15, v3, v1
	ds_bpermute_b32 v2, v3, v0
	s_waitcnt lgkmcnt(2)
	v_cndmask_b32_e64 v17, v19, v18, s[2:3]
	ds_bpermute_b32 v18, v3, v14
	ds_bpermute_b32 v19, v3, v17
	s_waitcnt lgkmcnt(3)
	v_and_b32_e32 v3, 0xffffff00, v15
	v_or_b32_sdwa v3, v15, v3 dst_sel:DWORD dst_unused:UNUSED_PAD src0_sel:BYTE_0 src1_sel:DWORD
	s_waitcnt lgkmcnt(2)
	v_cmp_gt_f64_e32 vcc, v[0:1], v[2:3]
	s_waitcnt lgkmcnt(1)
	v_and_b32_e32 v15, 0xffffff00, v18
	v_or_b32_sdwa v15, v18, v15 dst_sel:DWORD dst_unused:UNUSED_PAD src0_sel:BYTE_0 src1_sel:DWORD
	v_cndmask_b32_e32 v1, v1, v3, vcc
	v_xor_b32_e32 v3, 8, v23
	v_cmp_lt_i32_e64 s[2:3], v3, v16
	v_cndmask_b32_e64 v3, v23, v3, s[2:3]
	v_lshlrev_b32_e32 v18, 2, v3
	ds_bpermute_b32 v3, v18, v1
	v_cndmask_b32_e32 v0, v0, v2, vcc
	ds_bpermute_b32 v2, v18, v0
	v_cndmask_b32_e32 v14, v14, v15, vcc
	ds_bpermute_b32 v15, v18, v14
	s_waitcnt lgkmcnt(2)
	v_and_b32_e32 v20, 0xffffff00, v3
	v_or_b32_sdwa v3, v3, v20 dst_sel:DWORD dst_unused:UNUSED_PAD src0_sel:BYTE_0 src1_sel:DWORD
	s_waitcnt lgkmcnt(1)
	v_cmp_gt_f64_e64 s[2:3], v[0:1], v[2:3]
	v_cndmask_b32_e32 v17, v17, v19, vcc
	s_waitcnt lgkmcnt(0)
	v_and_b32_e32 v19, 0xffffff00, v15
	ds_bpermute_b32 v18, v18, v17
	v_or_b32_sdwa v15, v15, v19 dst_sel:DWORD dst_unused:UNUSED_PAD src0_sel:BYTE_0 src1_sel:DWORD
	v_cndmask_b32_e64 v0, v0, v2, s[2:3]
	v_xor_b32_e32 v2, 16, v23
	v_cmp_lt_i32_e32 vcc, v2, v16
	v_cndmask_b32_e32 v2, v23, v2, vcc
	v_cndmask_b32_e64 v1, v1, v3, s[2:3]
	v_lshlrev_b32_e32 v3, 2, v2
	v_cndmask_b32_e64 v14, v14, v15, s[2:3]
	ds_bpermute_b32 v15, v3, v1
	ds_bpermute_b32 v2, v3, v0
	s_waitcnt lgkmcnt(2)
	v_cndmask_b32_e64 v17, v17, v18, s[2:3]
	ds_bpermute_b32 v18, v3, v14
	ds_bpermute_b32 v19, v3, v17
	s_waitcnt lgkmcnt(3)
	v_and_b32_e32 v3, 0xffffff00, v15
	v_or_b32_sdwa v3, v15, v3 dst_sel:DWORD dst_unused:UNUSED_PAD src0_sel:BYTE_0 src1_sel:DWORD
	s_waitcnt lgkmcnt(2)
	v_cmp_gt_f64_e32 vcc, v[0:1], v[2:3]
	s_waitcnt lgkmcnt(1)
	v_and_b32_e32 v15, 0xffffff00, v18
	v_or_b32_sdwa v15, v18, v15 dst_sel:DWORD dst_unused:UNUSED_PAD src0_sel:BYTE_0 src1_sel:DWORD
	v_cndmask_b32_e32 v1, v1, v3, vcc
	v_xor_b32_e32 v3, 32, v23
	v_cmp_lt_i32_e64 s[2:3], v3, v16
	v_cndmask_b32_e64 v3, v23, v3, s[2:3]
	v_lshlrev_b32_e32 v16, 2, v3
	ds_bpermute_b32 v3, v16, v1
	v_cndmask_b32_e32 v0, v0, v2, vcc
	ds_bpermute_b32 v2, v16, v0
	v_cndmask_b32_e32 v14, v14, v15, vcc
	ds_bpermute_b32 v15, v16, v14
	s_waitcnt lgkmcnt(2)
	v_and_b32_e32 v18, 0xffffff00, v3
	v_or_b32_sdwa v3, v3, v18 dst_sel:DWORD dst_unused:UNUSED_PAD src0_sel:BYTE_0 src1_sel:DWORD
	s_waitcnt lgkmcnt(1)
	v_cmp_gt_f64_e64 s[2:3], v[0:1], v[2:3]
	v_cndmask_b32_e32 v18, v17, v19, vcc
	ds_bpermute_b32 v19, v16, v18
	s_waitcnt lgkmcnt(1)
	v_and_b32_e32 v16, 0xffffff00, v15
	v_or_b32_sdwa v15, v15, v16 dst_sel:DWORD dst_unused:UNUSED_PAD src0_sel:BYTE_0 src1_sel:DWORD
	v_cndmask_b32_e64 v17, v1, v3, s[2:3]
	v_cndmask_b32_e64 v16, v0, v2, s[2:3]
	v_cndmask_b32_e64 v15, v14, v15, s[2:3]
	s_waitcnt lgkmcnt(0)
	v_cndmask_b32_e64 v14, v18, v19, s[2:3]
.LBB1_50:
	s_andn2_b64 vcc, exec, s[24:25]
	s_cbranch_vccnz .LBB1_58
; %bb.51:
	v_cmp_eq_u32_e32 vcc, 0, v12
	s_and_saveexec_b64 s[2:3], vcc
; %bb.52:
	v_lshlrev_b32_e32 v0, 3, v26
	ds_write2_b64 v0, v[16:17], v[14:15] offset1:16
; %bb.53:
	s_or_b64 exec, exec, s[2:3]
	v_add_co_u32_e32 v0, vcc, 63, v24
	v_addc_co_u32_e32 v1, vcc, 0, v25, vcc
	s_mov_b64 s[2:3], 0x7f
	v_cmp_gt_u64_e32 vcc, s[2:3], v[0:1]
	s_waitcnt lgkmcnt(0)
	s_barrier
	s_and_saveexec_b64 s[6:7], vcc
	s_cbranch_execz .LBB1_57
; %bb.54:
	v_lshlrev_b64 v[0:1], 6, v[12:13]
	v_mov_b32_e32 v2, s14
	v_cmp_gt_i64_e32 vcc, s[4:5], v[0:1]
	v_mov_b32_e32 v0, s12
	v_mov_b32_e32 v1, s13
	;; [unrolled: 1-line block ×3, first 2 shown]
	s_and_saveexec_b64 s[2:3], vcc
; %bb.55:
	v_lshlrev_b32_e32 v0, 3, v12
	ds_read2_b64 v[0:3], v0 offset1:16
; %bb.56:
	s_or_b64 exec, exec, s[2:3]
	v_and_b32_e32 v12, 64, v23
	v_add_u32_e32 v14, 64, v12
	v_xor_b32_e32 v12, 1, v23
	v_cmp_lt_i32_e32 vcc, v12, v14
	v_cndmask_b32_e32 v12, v23, v12, vcc
	v_lshlrev_b32_e32 v13, 2, v12
	s_waitcnt lgkmcnt(0)
	ds_bpermute_b32 v15, v13, v1
	ds_bpermute_b32 v12, v13, v0
	ds_bpermute_b32 v16, v13, v3
	ds_bpermute_b32 v17, v13, v2
	s_waitcnt lgkmcnt(3)
	v_and_b32_e32 v13, 0xffffff00, v15
	v_or_b32_sdwa v13, v15, v13 dst_sel:DWORD dst_unused:UNUSED_PAD src0_sel:BYTE_0 src1_sel:DWORD
	s_waitcnt lgkmcnt(2)
	v_cmp_gt_f64_e32 vcc, v[0:1], v[12:13]
	s_waitcnt lgkmcnt(1)
	v_and_b32_e32 v15, 0xffffff00, v16
	v_or_b32_sdwa v15, v16, v15 dst_sel:DWORD dst_unused:UNUSED_PAD src0_sel:BYTE_0 src1_sel:DWORD
	v_cndmask_b32_e32 v1, v1, v13, vcc
	v_xor_b32_e32 v13, 2, v23
	v_cmp_lt_i32_e64 s[2:3], v13, v14
	v_cndmask_b32_e64 v13, v23, v13, s[2:3]
	v_lshlrev_b32_e32 v16, 2, v13
	ds_bpermute_b32 v13, v16, v1
	v_cndmask_b32_e32 v0, v0, v12, vcc
	ds_bpermute_b32 v12, v16, v0
	v_cndmask_b32_e32 v3, v3, v15, vcc
	ds_bpermute_b32 v15, v16, v3
	s_waitcnt lgkmcnt(2)
	v_and_b32_e32 v18, 0xffffff00, v13
	v_or_b32_sdwa v13, v13, v18 dst_sel:DWORD dst_unused:UNUSED_PAD src0_sel:BYTE_0 src1_sel:DWORD
	s_waitcnt lgkmcnt(1)
	v_cmp_gt_f64_e64 s[2:3], v[0:1], v[12:13]
	v_cndmask_b32_e32 v2, v2, v17, vcc
	s_waitcnt lgkmcnt(0)
	v_and_b32_e32 v17, 0xffffff00, v15
	ds_bpermute_b32 v16, v16, v2
	v_cndmask_b32_e64 v1, v1, v13, s[2:3]
	v_or_b32_sdwa v13, v15, v17 dst_sel:DWORD dst_unused:UNUSED_PAD src0_sel:BYTE_0 src1_sel:DWORD
	v_cndmask_b32_e64 v0, v0, v12, s[2:3]
	v_cndmask_b32_e64 v12, v3, v13, s[2:3]
	v_xor_b32_e32 v3, 4, v23
	v_cmp_lt_i32_e32 vcc, v3, v14
	v_cndmask_b32_e32 v3, v23, v3, vcc
	v_lshlrev_b32_e32 v3, 2, v3
	ds_bpermute_b32 v13, v3, v1
	s_waitcnt lgkmcnt(1)
	v_cndmask_b32_e64 v15, v2, v16, s[2:3]
	ds_bpermute_b32 v2, v3, v0
	ds_bpermute_b32 v16, v3, v12
	;; [unrolled: 1-line block ×3, first 2 shown]
	s_waitcnt lgkmcnt(3)
	v_and_b32_e32 v3, 0xffffff00, v13
	v_or_b32_sdwa v3, v13, v3 dst_sel:DWORD dst_unused:UNUSED_PAD src0_sel:BYTE_0 src1_sel:DWORD
	s_waitcnt lgkmcnt(2)
	v_cmp_gt_f64_e32 vcc, v[0:1], v[2:3]
	s_waitcnt lgkmcnt(1)
	v_and_b32_e32 v13, 0xffffff00, v16
	v_or_b32_sdwa v13, v16, v13 dst_sel:DWORD dst_unused:UNUSED_PAD src0_sel:BYTE_0 src1_sel:DWORD
	v_cndmask_b32_e32 v1, v1, v3, vcc
	v_xor_b32_e32 v3, 8, v23
	v_cmp_lt_i32_e64 s[2:3], v3, v14
	v_cndmask_b32_e64 v3, v23, v3, s[2:3]
	v_lshlrev_b32_e32 v14, 2, v3
	ds_bpermute_b32 v3, v14, v1
	v_cndmask_b32_e32 v0, v0, v2, vcc
	ds_bpermute_b32 v2, v14, v0
	v_cndmask_b32_e32 v12, v12, v13, vcc
	ds_bpermute_b32 v13, v14, v12
	s_waitcnt lgkmcnt(2)
	v_and_b32_e32 v16, 0xffffff00, v3
	v_or_b32_sdwa v3, v3, v16 dst_sel:DWORD dst_unused:UNUSED_PAD src0_sel:BYTE_0 src1_sel:DWORD
	s_waitcnt lgkmcnt(1)
	v_cmp_gt_f64_e64 s[2:3], v[0:1], v[2:3]
	v_cndmask_b32_e32 v18, v15, v17, vcc
	ds_bpermute_b32 v14, v14, v18
	s_waitcnt lgkmcnt(1)
	v_and_b32_e32 v15, 0xffffff00, v13
	v_or_b32_sdwa v13, v13, v15 dst_sel:DWORD dst_unused:UNUSED_PAD src0_sel:BYTE_0 src1_sel:DWORD
	v_cndmask_b32_e64 v17, v1, v3, s[2:3]
	v_cndmask_b32_e64 v16, v0, v2, s[2:3]
	;; [unrolled: 1-line block ×3, first 2 shown]
	s_waitcnt lgkmcnt(0)
	v_cndmask_b32_e64 v14, v18, v14, s[2:3]
.LBB1_57:
	s_or_b64 exec, exec, s[6:7]
	s_barrier
.LBB1_58:
	v_mov_b32_e32 v0, 0
	ds_read_u8 v12, v0 offset:256
	v_cndmask_b32_e64 v1, v5, v17, s[0:1]
	v_cndmask_b32_e64 v0, v4, v16, s[0:1]
	;; [unrolled: 1-line block ×4, first 2 shown]
	s_waitcnt lgkmcnt(0)
	v_and_b32_e32 v12, 1, v12
	v_cmp_eq_u32_e64 s[2:3], 1, v12
.LBB1_59:
	v_mov_b32_e32 v12, s26
	s_and_b64 vcc, s[0:1], s[2:3]
	v_cndmask_b32_e32 v12, 32, v12, vcc
	s_branch .LBB1_64
.LBB1_60:
                                        ; implicit-def: $vgpr12
                                        ; implicit-def: $vgpr2_vgpr3
	s_cbranch_execz .LBB1_64
; %bb.61:
	v_mov_b32_e32 v12, 32
	s_and_saveexec_b64 s[2:3], s[0:1]
; %bb.62:
	v_mov_b32_e32 v6, v8
	v_mov_b32_e32 v4, v10
	;; [unrolled: 1-line block ×5, first 2 shown]
; %bb.63:
	s_or_b64 exec, exec, s[2:3]
	s_waitcnt lgkmcnt(2)
	v_mov_b32_e32 v0, v4
	s_waitcnt lgkmcnt(0)
	v_mov_b32_e32 v2, v6
	v_mov_b32_e32 v1, v5
	;; [unrolled: 1-line block ×3, first 2 shown]
.LBB1_64:
	v_cmp_ne_u32_e32 vcc, 32, v12
	s_and_saveexec_b64 s[0:1], vcc
	s_cbranch_execz .LBB1_3
; %bb.65:
	v_ashrrev_i32_e32 v13, 31, v12
	v_lshlrev_b64 v[4:5], 4, v[12:13]
	v_mov_b32_e32 v6, s23
	v_add_co_u32_e32 v4, vcc, s22, v4
	v_addc_co_u32_e32 v5, vcc, v6, v5, vcc
	s_waitcnt lgkmcnt(0)
	flat_store_dwordx4 v[4:5], v[0:3]
	s_endpgm
.LBB1_66:
                                        ; implicit-def: $vgpr10_vgpr11
                                        ; implicit-def: $vgpr8_vgpr9
	s_cbranch_execnz .LBB1_18
	s_branch .LBB1_19
.LBB1_67:
                                        ; implicit-def: $vgpr16_vgpr17
                                        ; implicit-def: $vgpr14_vgpr15
	s_cbranch_execnz .LBB1_49
	s_branch .LBB1_50
	.section	.rodata,"a",@progbits
	.p2align	6, 0x0
	.amdhsa_kernel _ZN4RAJA6policy3hip4impl18forallp_hip_kernelINS1_8hip_execINS_17iteration_mapping6DirectENS_3hip11IndexGlobalILNS_9named_dimE0ELi256ELi0EEENS7_40AvoidDeviceMaxThreadOccupancyConcretizerINS7_34FractionOffsetOccupancyConcretizerINS_8FractionImLm1ELm1EEELln1EEEEELb1EEENS_9Iterators16numeric_iteratorIllPlEEZN8rajaperf5lcals9FIRST_MIN17runHipVariantRAJAILm256ENSM_11gpu_mapping20global_direct_helperEEEvNSM_9VariantIDEEUllE_lNS_4expt15ForallParamPackIJEEES6_SA_TnNSt9enable_ifIXaasr3std10is_base_ofINS5_10DirectBaseET4_EE5valuegtsrT5_10block_sizeLi0EEmE4typeELm256EEEvT1_T0_T2_T3_
		.amdhsa_group_segment_fixed_size 257
		.amdhsa_private_segment_fixed_size 0
		.amdhsa_kernarg_size 368
		.amdhsa_user_sgpr_count 6
		.amdhsa_user_sgpr_private_segment_buffer 1
		.amdhsa_user_sgpr_dispatch_ptr 0
		.amdhsa_user_sgpr_queue_ptr 0
		.amdhsa_user_sgpr_kernarg_segment_ptr 1
		.amdhsa_user_sgpr_dispatch_id 0
		.amdhsa_user_sgpr_flat_scratch_init 0
		.amdhsa_user_sgpr_private_segment_size 0
		.amdhsa_uses_dynamic_stack 0
		.amdhsa_system_sgpr_private_segment_wavefront_offset 0
		.amdhsa_system_sgpr_workgroup_id_x 1
		.amdhsa_system_sgpr_workgroup_id_y 1
		.amdhsa_system_sgpr_workgroup_id_z 1
		.amdhsa_system_sgpr_workgroup_info 0
		.amdhsa_system_vgpr_workitem_id 2
		.amdhsa_next_free_vgpr 32
		.amdhsa_next_free_sgpr 32
		.amdhsa_reserve_vcc 1
		.amdhsa_reserve_flat_scratch 0
		.amdhsa_float_round_mode_32 0
		.amdhsa_float_round_mode_16_64 0
		.amdhsa_float_denorm_mode_32 3
		.amdhsa_float_denorm_mode_16_64 3
		.amdhsa_dx10_clamp 1
		.amdhsa_ieee_mode 1
		.amdhsa_fp16_overflow 0
		.amdhsa_exception_fp_ieee_invalid_op 0
		.amdhsa_exception_fp_denorm_src 0
		.amdhsa_exception_fp_ieee_div_zero 0
		.amdhsa_exception_fp_ieee_overflow 0
		.amdhsa_exception_fp_ieee_underflow 0
		.amdhsa_exception_fp_ieee_inexact 0
		.amdhsa_exception_int_div_zero 0
	.end_amdhsa_kernel
	.section	.text._ZN4RAJA6policy3hip4impl18forallp_hip_kernelINS1_8hip_execINS_17iteration_mapping6DirectENS_3hip11IndexGlobalILNS_9named_dimE0ELi256ELi0EEENS7_40AvoidDeviceMaxThreadOccupancyConcretizerINS7_34FractionOffsetOccupancyConcretizerINS_8FractionImLm1ELm1EEELln1EEEEELb1EEENS_9Iterators16numeric_iteratorIllPlEEZN8rajaperf5lcals9FIRST_MIN17runHipVariantRAJAILm256ENSM_11gpu_mapping20global_direct_helperEEEvNSM_9VariantIDEEUllE_lNS_4expt15ForallParamPackIJEEES6_SA_TnNSt9enable_ifIXaasr3std10is_base_ofINS5_10DirectBaseET4_EE5valuegtsrT5_10block_sizeLi0EEmE4typeELm256EEEvT1_T0_T2_T3_,"axG",@progbits,_ZN4RAJA6policy3hip4impl18forallp_hip_kernelINS1_8hip_execINS_17iteration_mapping6DirectENS_3hip11IndexGlobalILNS_9named_dimE0ELi256ELi0EEENS7_40AvoidDeviceMaxThreadOccupancyConcretizerINS7_34FractionOffsetOccupancyConcretizerINS_8FractionImLm1ELm1EEELln1EEEEELb1EEENS_9Iterators16numeric_iteratorIllPlEEZN8rajaperf5lcals9FIRST_MIN17runHipVariantRAJAILm256ENSM_11gpu_mapping20global_direct_helperEEEvNSM_9VariantIDEEUllE_lNS_4expt15ForallParamPackIJEEES6_SA_TnNSt9enable_ifIXaasr3std10is_base_ofINS5_10DirectBaseET4_EE5valuegtsrT5_10block_sizeLi0EEmE4typeELm256EEEvT1_T0_T2_T3_,comdat
.Lfunc_end1:
	.size	_ZN4RAJA6policy3hip4impl18forallp_hip_kernelINS1_8hip_execINS_17iteration_mapping6DirectENS_3hip11IndexGlobalILNS_9named_dimE0ELi256ELi0EEENS7_40AvoidDeviceMaxThreadOccupancyConcretizerINS7_34FractionOffsetOccupancyConcretizerINS_8FractionImLm1ELm1EEELln1EEEEELb1EEENS_9Iterators16numeric_iteratorIllPlEEZN8rajaperf5lcals9FIRST_MIN17runHipVariantRAJAILm256ENSM_11gpu_mapping20global_direct_helperEEEvNSM_9VariantIDEEUllE_lNS_4expt15ForallParamPackIJEEES6_SA_TnNSt9enable_ifIXaasr3std10is_base_ofINS5_10DirectBaseET4_EE5valuegtsrT5_10block_sizeLi0EEmE4typeELm256EEEvT1_T0_T2_T3_, .Lfunc_end1-_ZN4RAJA6policy3hip4impl18forallp_hip_kernelINS1_8hip_execINS_17iteration_mapping6DirectENS_3hip11IndexGlobalILNS_9named_dimE0ELi256ELi0EEENS7_40AvoidDeviceMaxThreadOccupancyConcretizerINS7_34FractionOffsetOccupancyConcretizerINS_8FractionImLm1ELm1EEELln1EEEEELb1EEENS_9Iterators16numeric_iteratorIllPlEEZN8rajaperf5lcals9FIRST_MIN17runHipVariantRAJAILm256ENSM_11gpu_mapping20global_direct_helperEEEvNSM_9VariantIDEEUllE_lNS_4expt15ForallParamPackIJEEES6_SA_TnNSt9enable_ifIXaasr3std10is_base_ofINS5_10DirectBaseET4_EE5valuegtsrT5_10block_sizeLi0EEmE4typeELm256EEEvT1_T0_T2_T3_
                                        ; -- End function
	.set _ZN4RAJA6policy3hip4impl18forallp_hip_kernelINS1_8hip_execINS_17iteration_mapping6DirectENS_3hip11IndexGlobalILNS_9named_dimE0ELi256ELi0EEENS7_40AvoidDeviceMaxThreadOccupancyConcretizerINS7_34FractionOffsetOccupancyConcretizerINS_8FractionImLm1ELm1EEELln1EEEEELb1EEENS_9Iterators16numeric_iteratorIllPlEEZN8rajaperf5lcals9FIRST_MIN17runHipVariantRAJAILm256ENSM_11gpu_mapping20global_direct_helperEEEvNSM_9VariantIDEEUllE_lNS_4expt15ForallParamPackIJEEES6_SA_TnNSt9enable_ifIXaasr3std10is_base_ofINS5_10DirectBaseET4_EE5valuegtsrT5_10block_sizeLi0EEmE4typeELm256EEEvT1_T0_T2_T3_.num_vgpr, 32
	.set _ZN4RAJA6policy3hip4impl18forallp_hip_kernelINS1_8hip_execINS_17iteration_mapping6DirectENS_3hip11IndexGlobalILNS_9named_dimE0ELi256ELi0EEENS7_40AvoidDeviceMaxThreadOccupancyConcretizerINS7_34FractionOffsetOccupancyConcretizerINS_8FractionImLm1ELm1EEELln1EEEEELb1EEENS_9Iterators16numeric_iteratorIllPlEEZN8rajaperf5lcals9FIRST_MIN17runHipVariantRAJAILm256ENSM_11gpu_mapping20global_direct_helperEEEvNSM_9VariantIDEEUllE_lNS_4expt15ForallParamPackIJEEES6_SA_TnNSt9enable_ifIXaasr3std10is_base_ofINS5_10DirectBaseET4_EE5valuegtsrT5_10block_sizeLi0EEmE4typeELm256EEEvT1_T0_T2_T3_.num_agpr, 0
	.set _ZN4RAJA6policy3hip4impl18forallp_hip_kernelINS1_8hip_execINS_17iteration_mapping6DirectENS_3hip11IndexGlobalILNS_9named_dimE0ELi256ELi0EEENS7_40AvoidDeviceMaxThreadOccupancyConcretizerINS7_34FractionOffsetOccupancyConcretizerINS_8FractionImLm1ELm1EEELln1EEEEELb1EEENS_9Iterators16numeric_iteratorIllPlEEZN8rajaperf5lcals9FIRST_MIN17runHipVariantRAJAILm256ENSM_11gpu_mapping20global_direct_helperEEEvNSM_9VariantIDEEUllE_lNS_4expt15ForallParamPackIJEEES6_SA_TnNSt9enable_ifIXaasr3std10is_base_ofINS5_10DirectBaseET4_EE5valuegtsrT5_10block_sizeLi0EEmE4typeELm256EEEvT1_T0_T2_T3_.numbered_sgpr, 32
	.set _ZN4RAJA6policy3hip4impl18forallp_hip_kernelINS1_8hip_execINS_17iteration_mapping6DirectENS_3hip11IndexGlobalILNS_9named_dimE0ELi256ELi0EEENS7_40AvoidDeviceMaxThreadOccupancyConcretizerINS7_34FractionOffsetOccupancyConcretizerINS_8FractionImLm1ELm1EEELln1EEEEELb1EEENS_9Iterators16numeric_iteratorIllPlEEZN8rajaperf5lcals9FIRST_MIN17runHipVariantRAJAILm256ENSM_11gpu_mapping20global_direct_helperEEEvNSM_9VariantIDEEUllE_lNS_4expt15ForallParamPackIJEEES6_SA_TnNSt9enable_ifIXaasr3std10is_base_ofINS5_10DirectBaseET4_EE5valuegtsrT5_10block_sizeLi0EEmE4typeELm256EEEvT1_T0_T2_T3_.num_named_barrier, 0
	.set _ZN4RAJA6policy3hip4impl18forallp_hip_kernelINS1_8hip_execINS_17iteration_mapping6DirectENS_3hip11IndexGlobalILNS_9named_dimE0ELi256ELi0EEENS7_40AvoidDeviceMaxThreadOccupancyConcretizerINS7_34FractionOffsetOccupancyConcretizerINS_8FractionImLm1ELm1EEELln1EEEEELb1EEENS_9Iterators16numeric_iteratorIllPlEEZN8rajaperf5lcals9FIRST_MIN17runHipVariantRAJAILm256ENSM_11gpu_mapping20global_direct_helperEEEvNSM_9VariantIDEEUllE_lNS_4expt15ForallParamPackIJEEES6_SA_TnNSt9enable_ifIXaasr3std10is_base_ofINS5_10DirectBaseET4_EE5valuegtsrT5_10block_sizeLi0EEmE4typeELm256EEEvT1_T0_T2_T3_.private_seg_size, 0
	.set _ZN4RAJA6policy3hip4impl18forallp_hip_kernelINS1_8hip_execINS_17iteration_mapping6DirectENS_3hip11IndexGlobalILNS_9named_dimE0ELi256ELi0EEENS7_40AvoidDeviceMaxThreadOccupancyConcretizerINS7_34FractionOffsetOccupancyConcretizerINS_8FractionImLm1ELm1EEELln1EEEEELb1EEENS_9Iterators16numeric_iteratorIllPlEEZN8rajaperf5lcals9FIRST_MIN17runHipVariantRAJAILm256ENSM_11gpu_mapping20global_direct_helperEEEvNSM_9VariantIDEEUllE_lNS_4expt15ForallParamPackIJEEES6_SA_TnNSt9enable_ifIXaasr3std10is_base_ofINS5_10DirectBaseET4_EE5valuegtsrT5_10block_sizeLi0EEmE4typeELm256EEEvT1_T0_T2_T3_.uses_vcc, 1
	.set _ZN4RAJA6policy3hip4impl18forallp_hip_kernelINS1_8hip_execINS_17iteration_mapping6DirectENS_3hip11IndexGlobalILNS_9named_dimE0ELi256ELi0EEENS7_40AvoidDeviceMaxThreadOccupancyConcretizerINS7_34FractionOffsetOccupancyConcretizerINS_8FractionImLm1ELm1EEELln1EEEEELb1EEENS_9Iterators16numeric_iteratorIllPlEEZN8rajaperf5lcals9FIRST_MIN17runHipVariantRAJAILm256ENSM_11gpu_mapping20global_direct_helperEEEvNSM_9VariantIDEEUllE_lNS_4expt15ForallParamPackIJEEES6_SA_TnNSt9enable_ifIXaasr3std10is_base_ofINS5_10DirectBaseET4_EE5valuegtsrT5_10block_sizeLi0EEmE4typeELm256EEEvT1_T0_T2_T3_.uses_flat_scratch, 0
	.set _ZN4RAJA6policy3hip4impl18forallp_hip_kernelINS1_8hip_execINS_17iteration_mapping6DirectENS_3hip11IndexGlobalILNS_9named_dimE0ELi256ELi0EEENS7_40AvoidDeviceMaxThreadOccupancyConcretizerINS7_34FractionOffsetOccupancyConcretizerINS_8FractionImLm1ELm1EEELln1EEEEELb1EEENS_9Iterators16numeric_iteratorIllPlEEZN8rajaperf5lcals9FIRST_MIN17runHipVariantRAJAILm256ENSM_11gpu_mapping20global_direct_helperEEEvNSM_9VariantIDEEUllE_lNS_4expt15ForallParamPackIJEEES6_SA_TnNSt9enable_ifIXaasr3std10is_base_ofINS5_10DirectBaseET4_EE5valuegtsrT5_10block_sizeLi0EEmE4typeELm256EEEvT1_T0_T2_T3_.has_dyn_sized_stack, 0
	.set _ZN4RAJA6policy3hip4impl18forallp_hip_kernelINS1_8hip_execINS_17iteration_mapping6DirectENS_3hip11IndexGlobalILNS_9named_dimE0ELi256ELi0EEENS7_40AvoidDeviceMaxThreadOccupancyConcretizerINS7_34FractionOffsetOccupancyConcretizerINS_8FractionImLm1ELm1EEELln1EEEEELb1EEENS_9Iterators16numeric_iteratorIllPlEEZN8rajaperf5lcals9FIRST_MIN17runHipVariantRAJAILm256ENSM_11gpu_mapping20global_direct_helperEEEvNSM_9VariantIDEEUllE_lNS_4expt15ForallParamPackIJEEES6_SA_TnNSt9enable_ifIXaasr3std10is_base_ofINS5_10DirectBaseET4_EE5valuegtsrT5_10block_sizeLi0EEmE4typeELm256EEEvT1_T0_T2_T3_.has_recursion, 0
	.set _ZN4RAJA6policy3hip4impl18forallp_hip_kernelINS1_8hip_execINS_17iteration_mapping6DirectENS_3hip11IndexGlobalILNS_9named_dimE0ELi256ELi0EEENS7_40AvoidDeviceMaxThreadOccupancyConcretizerINS7_34FractionOffsetOccupancyConcretizerINS_8FractionImLm1ELm1EEELln1EEEEELb1EEENS_9Iterators16numeric_iteratorIllPlEEZN8rajaperf5lcals9FIRST_MIN17runHipVariantRAJAILm256ENSM_11gpu_mapping20global_direct_helperEEEvNSM_9VariantIDEEUllE_lNS_4expt15ForallParamPackIJEEES6_SA_TnNSt9enable_ifIXaasr3std10is_base_ofINS5_10DirectBaseET4_EE5valuegtsrT5_10block_sizeLi0EEmE4typeELm256EEEvT1_T0_T2_T3_.has_indirect_call, 0
	.section	.AMDGPU.csdata,"",@progbits
; Kernel info:
; codeLenInByte = 5712
; TotalNumSgprs: 36
; NumVgprs: 32
; ScratchSize: 0
; MemoryBound: 0
; FloatMode: 240
; IeeeMode: 1
; LDSByteSize: 257 bytes/workgroup (compile time only)
; SGPRBlocks: 4
; VGPRBlocks: 7
; NumSGPRsForWavesPerEU: 36
; NumVGPRsForWavesPerEU: 32
; Occupancy: 8
; WaveLimiterHint : 1
; COMPUTE_PGM_RSRC2:SCRATCH_EN: 0
; COMPUTE_PGM_RSRC2:USER_SGPR: 6
; COMPUTE_PGM_RSRC2:TRAP_HANDLER: 0
; COMPUTE_PGM_RSRC2:TGID_X_EN: 1
; COMPUTE_PGM_RSRC2:TGID_Y_EN: 1
; COMPUTE_PGM_RSRC2:TGID_Z_EN: 1
; COMPUTE_PGM_RSRC2:TIDIG_COMP_CNT: 2
	.section	.text._ZN4RAJA6policy3hip4impl18forallp_hip_kernelINS1_8hip_execINS_17iteration_mapping6DirectENS_3hip11IndexGlobalILNS_9named_dimE0ELi256ELi0EEENS7_40AvoidDeviceMaxThreadOccupancyConcretizerINS7_34FractionOffsetOccupancyConcretizerINS_8FractionImLm1ELm1EEELln1EEEEELb1EEENS_9Iterators16numeric_iteratorIllPlEEZN8rajaperf5lcals9FIRST_MIN26runHipVariantRAJANewReduceILm256ENSM_11gpu_mapping20global_direct_helperEEEvNSM_9VariantIDEEUllRNS_4expt5ValOpINST_6ValLocIdlEENS_9operators7minimumEEEE_lNST_15ForallParamPackIJNST_6detail7ReducerINSY_ISW_SW_SW_EESW_SZ_EEEEES6_SA_TnNSt9enable_ifIXaasr3std10is_base_ofINS5_10DirectBaseET4_EE5valuegtsrT5_10block_sizeLi0EEmE4typeELm256EEEvT1_T0_T2_T3_,"axG",@progbits,_ZN4RAJA6policy3hip4impl18forallp_hip_kernelINS1_8hip_execINS_17iteration_mapping6DirectENS_3hip11IndexGlobalILNS_9named_dimE0ELi256ELi0EEENS7_40AvoidDeviceMaxThreadOccupancyConcretizerINS7_34FractionOffsetOccupancyConcretizerINS_8FractionImLm1ELm1EEELln1EEEEELb1EEENS_9Iterators16numeric_iteratorIllPlEEZN8rajaperf5lcals9FIRST_MIN26runHipVariantRAJANewReduceILm256ENSM_11gpu_mapping20global_direct_helperEEEvNSM_9VariantIDEEUllRNS_4expt5ValOpINST_6ValLocIdlEENS_9operators7minimumEEEE_lNST_15ForallParamPackIJNST_6detail7ReducerINSY_ISW_SW_SW_EESW_SZ_EEEEES6_SA_TnNSt9enable_ifIXaasr3std10is_base_ofINS5_10DirectBaseET4_EE5valuegtsrT5_10block_sizeLi0EEmE4typeELm256EEEvT1_T0_T2_T3_,comdat
	.protected	_ZN4RAJA6policy3hip4impl18forallp_hip_kernelINS1_8hip_execINS_17iteration_mapping6DirectENS_3hip11IndexGlobalILNS_9named_dimE0ELi256ELi0EEENS7_40AvoidDeviceMaxThreadOccupancyConcretizerINS7_34FractionOffsetOccupancyConcretizerINS_8FractionImLm1ELm1EEELln1EEEEELb1EEENS_9Iterators16numeric_iteratorIllPlEEZN8rajaperf5lcals9FIRST_MIN26runHipVariantRAJANewReduceILm256ENSM_11gpu_mapping20global_direct_helperEEEvNSM_9VariantIDEEUllRNS_4expt5ValOpINST_6ValLocIdlEENS_9operators7minimumEEEE_lNST_15ForallParamPackIJNST_6detail7ReducerINSY_ISW_SW_SW_EESW_SZ_EEEEES6_SA_TnNSt9enable_ifIXaasr3std10is_base_ofINS5_10DirectBaseET4_EE5valuegtsrT5_10block_sizeLi0EEmE4typeELm256EEEvT1_T0_T2_T3_ ; -- Begin function _ZN4RAJA6policy3hip4impl18forallp_hip_kernelINS1_8hip_execINS_17iteration_mapping6DirectENS_3hip11IndexGlobalILNS_9named_dimE0ELi256ELi0EEENS7_40AvoidDeviceMaxThreadOccupancyConcretizerINS7_34FractionOffsetOccupancyConcretizerINS_8FractionImLm1ELm1EEELln1EEEEELb1EEENS_9Iterators16numeric_iteratorIllPlEEZN8rajaperf5lcals9FIRST_MIN26runHipVariantRAJANewReduceILm256ENSM_11gpu_mapping20global_direct_helperEEEvNSM_9VariantIDEEUllRNS_4expt5ValOpINST_6ValLocIdlEENS_9operators7minimumEEEE_lNST_15ForallParamPackIJNST_6detail7ReducerINSY_ISW_SW_SW_EESW_SZ_EEEEES6_SA_TnNSt9enable_ifIXaasr3std10is_base_ofINS5_10DirectBaseET4_EE5valuegtsrT5_10block_sizeLi0EEmE4typeELm256EEEvT1_T0_T2_T3_
	.globl	_ZN4RAJA6policy3hip4impl18forallp_hip_kernelINS1_8hip_execINS_17iteration_mapping6DirectENS_3hip11IndexGlobalILNS_9named_dimE0ELi256ELi0EEENS7_40AvoidDeviceMaxThreadOccupancyConcretizerINS7_34FractionOffsetOccupancyConcretizerINS_8FractionImLm1ELm1EEELln1EEEEELb1EEENS_9Iterators16numeric_iteratorIllPlEEZN8rajaperf5lcals9FIRST_MIN26runHipVariantRAJANewReduceILm256ENSM_11gpu_mapping20global_direct_helperEEEvNSM_9VariantIDEEUllRNS_4expt5ValOpINST_6ValLocIdlEENS_9operators7minimumEEEE_lNST_15ForallParamPackIJNST_6detail7ReducerINSY_ISW_SW_SW_EESW_SZ_EEEEES6_SA_TnNSt9enable_ifIXaasr3std10is_base_ofINS5_10DirectBaseET4_EE5valuegtsrT5_10block_sizeLi0EEmE4typeELm256EEEvT1_T0_T2_T3_
	.p2align	8
	.type	_ZN4RAJA6policy3hip4impl18forallp_hip_kernelINS1_8hip_execINS_17iteration_mapping6DirectENS_3hip11IndexGlobalILNS_9named_dimE0ELi256ELi0EEENS7_40AvoidDeviceMaxThreadOccupancyConcretizerINS7_34FractionOffsetOccupancyConcretizerINS_8FractionImLm1ELm1EEELln1EEEEELb1EEENS_9Iterators16numeric_iteratorIllPlEEZN8rajaperf5lcals9FIRST_MIN26runHipVariantRAJANewReduceILm256ENSM_11gpu_mapping20global_direct_helperEEEvNSM_9VariantIDEEUllRNS_4expt5ValOpINST_6ValLocIdlEENS_9operators7minimumEEEE_lNST_15ForallParamPackIJNST_6detail7ReducerINSY_ISW_SW_SW_EESW_SZ_EEEEES6_SA_TnNSt9enable_ifIXaasr3std10is_base_ofINS5_10DirectBaseET4_EE5valuegtsrT5_10block_sizeLi0EEmE4typeELm256EEEvT1_T0_T2_T3_,@function
_ZN4RAJA6policy3hip4impl18forallp_hip_kernelINS1_8hip_execINS_17iteration_mapping6DirectENS_3hip11IndexGlobalILNS_9named_dimE0ELi256ELi0EEENS7_40AvoidDeviceMaxThreadOccupancyConcretizerINS7_34FractionOffsetOccupancyConcretizerINS_8FractionImLm1ELm1EEELln1EEEEELb1EEENS_9Iterators16numeric_iteratorIllPlEEZN8rajaperf5lcals9FIRST_MIN26runHipVariantRAJANewReduceILm256ENSM_11gpu_mapping20global_direct_helperEEEvNSM_9VariantIDEEUllRNS_4expt5ValOpINST_6ValLocIdlEENS_9operators7minimumEEEE_lNST_15ForallParamPackIJNST_6detail7ReducerINSY_ISW_SW_SW_EESW_SZ_EEEEES6_SA_TnNSt9enable_ifIXaasr3std10is_base_ofINS5_10DirectBaseET4_EE5valuegtsrT5_10block_sizeLi0EEmE4typeELm256EEEvT1_T0_T2_T3_: ; @_ZN4RAJA6policy3hip4impl18forallp_hip_kernelINS1_8hip_execINS_17iteration_mapping6DirectENS_3hip11IndexGlobalILNS_9named_dimE0ELi256ELi0EEENS7_40AvoidDeviceMaxThreadOccupancyConcretizerINS7_34FractionOffsetOccupancyConcretizerINS_8FractionImLm1ELm1EEELln1EEEEELb1EEENS_9Iterators16numeric_iteratorIllPlEEZN8rajaperf5lcals9FIRST_MIN26runHipVariantRAJANewReduceILm256ENSM_11gpu_mapping20global_direct_helperEEEvNSM_9VariantIDEEUllRNS_4expt5ValOpINST_6ValLocIdlEENS_9operators7minimumEEEE_lNST_15ForallParamPackIJNST_6detail7ReducerINSY_ISW_SW_SW_EESW_SZ_EEEEES6_SA_TnNSt9enable_ifIXaasr3std10is_base_ofINS5_10DirectBaseET4_EE5valuegtsrT5_10block_sizeLi0EEmE4typeELm256EEEvT1_T0_T2_T3_
; %bb.0:
	s_load_dwordx8 s[8:15], s[4:5], 0x0
	s_load_dwordx2 s[0:1], s[4:5], 0x20
	s_mov_b32 s7, 0
	s_lshl_b64 s[2:3], s[6:7], 8
	v_or_b32_e32 v7, s2, v0
	v_mov_b32_e32 v8, s3
	s_waitcnt lgkmcnt(0)
	v_cmp_gt_i64_e32 vcc, s[12:13], v[7:8]
	v_mov_b32_e32 v5, s14
	v_mov_b32_e32 v4, s1
	v_mov_b32_e32 v6, s15
	v_mov_b32_e32 v3, s0
	s_and_saveexec_b64 s[2:3], vcc
	s_cbranch_execz .LBB2_2
; %bb.1:
	v_mov_b32_e32 v4, s11
	v_add_co_u32_e32 v3, vcc, s10, v7
	v_addc_co_u32_e32 v4, vcc, v8, v4, vcc
	v_lshlrev_b64 v[5:6], 3, v[3:4]
	v_mov_b32_e32 v7, s9
	v_add_co_u32_e32 v5, vcc, s8, v5
	v_addc_co_u32_e32 v6, vcc, v7, v6, vcc
	global_load_dwordx2 v[5:6], v[5:6], off
	v_mov_b32_e32 v7, s15
	v_mov_b32_e32 v8, s14
	;; [unrolled: 1-line block ×4, first 2 shown]
	s_waitcnt vmcnt(0)
	v_cmp_gt_f64_e32 vcc, s[14:15], v[5:6]
	v_cndmask_b32_e32 v6, v7, v6, vcc
	v_cndmask_b32_e32 v5, v8, v5, vcc
	;; [unrolled: 1-line block ×4, first 2 shown]
.LBB2_2:
	s_or_b64 exec, exec, s[2:3]
	v_mbcnt_lo_u32_b32 v7, -1, 0
	v_mbcnt_hi_u32_b32 v7, -1, v7
	v_and_b32_e32 v8, 64, v7
	v_add_u32_e32 v8, 64, v8
	v_xor_b32_e32 v9, 1, v7
	v_cmp_lt_i32_e32 vcc, v9, v8
	v_cndmask_b32_e32 v9, v7, v9, vcc
	v_lshlrev_b32_e32 v9, 2, v9
	ds_bpermute_b32 v11, v9, v5
	ds_bpermute_b32 v12, v9, v6
	v_xor_b32_e32 v10, 2, v7
	v_cmp_lt_i32_e64 s[0:1], v10, v8
	v_cndmask_b32_e64 v10, v7, v10, s[0:1]
	v_lshlrev_b32_e32 v10, 2, v10
	s_waitcnt lgkmcnt(0)
	v_cmp_gt_f64_e32 vcc, v[5:6], v[11:12]
	ds_bpermute_b32 v18, v9, v4
	ds_bpermute_b32 v19, v9, v3
	v_xor_b32_e32 v17, 16, v7
	v_cmp_lt_i32_e64 s[10:11], v17, v8
	s_add_u32 s20, s4, 0x58
	s_addc_u32 s21, s5, 0
	v_cndmask_b32_e32 v6, v6, v12, vcc
	v_cndmask_b32_e32 v5, v5, v11, vcc
	ds_bpermute_b32 v13, v10, v6
	ds_bpermute_b32 v12, v10, v5
	v_xor_b32_e32 v11, 4, v7
	v_cmp_lt_i32_e64 s[2:3], v11, v8
	v_cndmask_b32_e64 v11, v7, v11, s[2:3]
	v_lshlrev_b32_e32 v11, 2, v11
	s_waitcnt lgkmcnt(0)
	v_cmp_gt_f64_e64 s[0:1], v[5:6], v[12:13]
	v_cndmask_b32_e32 v4, v4, v18, vcc
	ds_bpermute_b32 v18, v10, v4
	v_cndmask_b32_e64 v6, v6, v13, s[0:1]
	v_cndmask_b32_e64 v5, v5, v12, s[0:1]
	ds_bpermute_b32 v14, v11, v6
	ds_bpermute_b32 v13, v11, v5
	v_xor_b32_e32 v12, 8, v7
	v_cmp_lt_i32_e64 s[8:9], v12, v8
	v_cndmask_b32_e64 v12, v7, v12, s[8:9]
	v_lshlrev_b32_e32 v12, 2, v12
	s_waitcnt lgkmcnt(0)
	v_cmp_gt_f64_e64 s[2:3], v[5:6], v[13:14]
	v_cndmask_b32_e64 v18, v4, v18, s[0:1]
	ds_bpermute_b32 v20, v11, v18
	v_cndmask_b32_e64 v6, v6, v14, s[2:3]
	v_cndmask_b32_e64 v5, v5, v13, s[2:3]
	ds_bpermute_b32 v16, v12, v6
	ds_bpermute_b32 v15, v12, v5
	v_cndmask_b32_e64 v14, v7, v17, s[10:11]
	v_cndmask_b32_e32 v17, v3, v19, vcc
	ds_bpermute_b32 v19, v10, v17
	v_lshlrev_b32_e32 v14, 2, v14
	s_waitcnt lgkmcnt(1)
	v_cmp_gt_f64_e64 s[8:9], v[5:6], v[15:16]
	v_xor_b32_e32 v13, 32, v7
	v_cndmask_b32_e64 v18, v18, v20, s[2:3]
	v_cndmask_b32_e64 v4, v6, v16, s[8:9]
	;; [unrolled: 1-line block ×3, first 2 shown]
	ds_bpermute_b32 v6, v14, v4
	ds_bpermute_b32 v5, v14, v3
	s_waitcnt lgkmcnt(2)
	v_cndmask_b32_e64 v16, v17, v19, s[0:1]
	ds_bpermute_b32 v17, v11, v16
	v_cmp_lt_i32_e64 s[0:1], v13, v8
	v_cndmask_b32_e64 v8, v7, v13, s[0:1]
	s_waitcnt lgkmcnt(1)
	v_cmp_gt_f64_e32 vcc, v[3:4], v[5:6]
	v_lshlrev_b32_e32 v15, 2, v8
	s_waitcnt lgkmcnt(0)
	v_cndmask_b32_e64 v8, v16, v17, s[2:3]
	ds_bpermute_b32 v19, v12, v18
	ds_bpermute_b32 v13, v12, v8
	v_cndmask_b32_e32 v4, v4, v6, vcc
	v_cndmask_b32_e32 v3, v3, v5, vcc
	ds_bpermute_b32 v6, v15, v4
	ds_bpermute_b32 v5, v15, v3
	s_waitcnt lgkmcnt(3)
	v_cndmask_b32_e64 v16, v18, v19, s[8:9]
	s_waitcnt lgkmcnt(2)
	v_cndmask_b32_e64 v8, v8, v13, s[8:9]
	ds_bpermute_b32 v17, v14, v16
	ds_bpermute_b32 v18, v14, v8
	s_waitcnt lgkmcnt(2)
	v_cmp_gt_f64_e64 s[0:1], v[3:4], v[5:6]
	v_and_b32_e32 v13, 63, v0
	s_waitcnt lgkmcnt(1)
	v_cndmask_b32_e32 v16, v16, v17, vcc
	s_waitcnt lgkmcnt(0)
	v_cndmask_b32_e32 v8, v8, v18, vcc
	ds_bpermute_b32 v17, v15, v16
	ds_bpermute_b32 v18, v15, v8
	v_cndmask_b32_e64 v4, v4, v6, s[0:1]
	v_cndmask_b32_e64 v3, v3, v5, s[0:1]
	s_waitcnt lgkmcnt(1)
	v_cndmask_b32_e64 v6, v16, v17, s[0:1]
	s_waitcnt lgkmcnt(0)
	v_cndmask_b32_e64 v5, v8, v18, s[0:1]
	v_cmp_eq_u32_e64 s[0:1], 0, v13
	s_and_saveexec_b64 s[2:3], s[0:1]
; %bb.3:
	v_lshrrev_b32_e32 v8, 2, v0
	ds_write2_b64 v8, v[3:4], v[5:6] offset1:1
; %bb.4:
	s_or_b64 exec, exec, s[2:3]
	s_load_dword s22, s[4:5], 0x58
	v_cmp_gt_u32_e64 s[2:3], 64, v0
	s_waitcnt lgkmcnt(0)
	s_barrier
	s_and_saveexec_b64 s[12:13], s[2:3]
	s_cbranch_execz .LBB2_8
; %bb.5:
	v_mov_b32_e32 v5, -1
	v_cmp_gt_u32_e32 vcc, 4, v13
	v_mov_b32_e32 v6, -1
	v_mov_b32_e32 v3, -1
	v_mov_b32_e32 v4, 0x7fefffff
	s_and_saveexec_b64 s[8:9], vcc
; %bb.6:
	v_lshlrev_b32_e32 v3, 4, v13
	ds_read_b128 v[3:6], v3
; %bb.7:
	s_or_b64 exec, exec, s[8:9]
	s_waitcnt lgkmcnt(0)
	ds_bpermute_b32 v8, v9, v4
	ds_bpermute_b32 v16, v9, v3
	;; [unrolled: 1-line block ×3, first 2 shown]
	s_waitcnt lgkmcnt(2)
	v_mov_b32_e32 v17, v8
	s_waitcnt lgkmcnt(1)
	v_cmp_gt_f64_e32 vcc, v[3:4], v[16:17]
	v_cndmask_b32_e32 v4, v4, v8, vcc
	ds_bpermute_b32 v8, v10, v4
	v_cndmask_b32_e32 v3, v3, v16, vcc
	ds_bpermute_b32 v16, v10, v3
	s_waitcnt lgkmcnt(1)
	v_mov_b32_e32 v17, v8
	s_waitcnt lgkmcnt(0)
	v_cmp_gt_f64_e64 s[8:9], v[3:4], v[16:17]
	ds_bpermute_b32 v17, v9, v6
	s_waitcnt lgkmcnt(0)
	v_cndmask_b32_e32 v6, v6, v17, vcc
	ds_bpermute_b32 v19, v10, v6
	v_cndmask_b32_e64 v4, v4, v8, s[8:9]
	ds_bpermute_b32 v8, v11, v4
	v_cndmask_b32_e64 v3, v3, v16, s[8:9]
	ds_bpermute_b32 v16, v11, v3
	s_waitcnt lgkmcnt(2)
	v_cndmask_b32_e64 v19, v6, v19, s[8:9]
	s_waitcnt lgkmcnt(1)
	v_mov_b32_e32 v17, v8
	s_waitcnt lgkmcnt(0)
	v_cmp_gt_f64_e64 s[10:11], v[3:4], v[16:17]
	v_cndmask_b32_e32 v17, v5, v18, vcc
	ds_bpermute_b32 v18, v10, v17
	v_cndmask_b32_e64 v4, v4, v8, s[10:11]
	ds_bpermute_b32 v8, v12, v4
	v_cndmask_b32_e64 v3, v3, v16, s[10:11]
	ds_bpermute_b32 v5, v12, v3
	s_waitcnt lgkmcnt(2)
	v_cndmask_b32_e64 v16, v17, v18, s[8:9]
	ds_bpermute_b32 v17, v11, v19
	ds_bpermute_b32 v18, v11, v16
	s_waitcnt lgkmcnt(3)
	v_mov_b32_e32 v6, v8
	s_waitcnt lgkmcnt(2)
	v_cmp_gt_f64_e32 vcc, v[3:4], v[5:6]
	s_waitcnt lgkmcnt(1)
	v_cndmask_b32_e64 v6, v19, v17, s[10:11]
	s_waitcnt lgkmcnt(0)
	v_cndmask_b32_e64 v16, v16, v18, s[10:11]
	ds_bpermute_b32 v17, v12, v6
	ds_bpermute_b32 v18, v12, v16
	v_cndmask_b32_e32 v4, v4, v8, vcc
	v_cndmask_b32_e32 v3, v3, v5, vcc
	s_waitcnt lgkmcnt(1)
	v_cndmask_b32_e32 v6, v6, v17, vcc
	s_waitcnt lgkmcnt(0)
	v_cndmask_b32_e32 v5, v16, v18, vcc
.LBB2_8:
	s_or_b64 exec, exec, s[12:13]
	s_load_dwordx8 s[12:19], s[4:5], 0x38
	v_mov_b32_e32 v8, 0
	v_cmp_eq_u32_e64 s[4:5], 0, v0
	v_mov_b32_e32 v16, 0
	s_waitcnt lgkmcnt(0)
	s_barrier
	s_and_saveexec_b64 s[8:9], s[4:5]
	s_cbranch_execz .LBB2_10
; %bb.9:
	s_ashr_i32 s7, s6, 31
	s_add_i32 s23, s22, -1
	s_lshl_b64 s[10:11], s[6:7], 3
	s_add_u32 s24, s14, s10
	s_addc_u32 s25, s15, s11
	v_mov_b32_e32 v16, 0
	s_add_u32 s10, s16, s10
	global_store_dwordx2 v16, v[3:4], s[24:25]
	s_addc_u32 s11, s17, s11
	v_mov_b32_e32 v3, s23
	global_store_dwordx2 v16, v[5:6], s[10:11]
	s_waitcnt vmcnt(0)
	buffer_wbinvl1_vol
	global_atomic_inc v3, v16, v3, s[18:19] glc
	s_waitcnt vmcnt(0)
	v_cmp_eq_u32_e32 vcc, s23, v3
	v_cndmask_b32_e64 v16, 0, 1, vcc
.LBB2_10:
	s_or_b64 exec, exec, s[8:9]
	global_load_dword v3, v8, s[20:21] offset:14
	v_or_b32_dpp v4, v16, v16 row_shl:1 row_mask:0xf bank_mask:0xf bound_ctrl:1
	s_waitcnt vmcnt(0)
	v_readfirstlane_b32 s7, v3
	s_lshr_b32 s10, s7, 16
	s_and_b32 s7, s7, 0xffff
	s_cmp_lt_u32 s6, s22
	s_cselect_b32 s6, 12, 18
	s_add_u32 s8, s20, s6
	s_addc_u32 s9, s21, 0
	global_load_ushort v3, v8, s[8:9]
	v_or_b32_dpp v4, v4, v4 row_shl:2 row_mask:0xf bank_mask:0xf bound_ctrl:1
	s_waitcnt vmcnt(0)
	v_readfirstlane_b32 s9, v3
	v_or_b32_dpp v4, v4, v4 row_shl:4 row_mask:0xf bank_mask:0xf bound_ctrl:1
	s_mul_i32 s9, s7, s9
	s_bfe_i32 s9, s9, 0x180000
	v_or_b32_dpp v4, v4, v4 row_shl:8 row_mask:0xf bank_mask:0xf bound_ctrl:1
	s_mul_i32 s9, s9, s10
	s_add_i32 s9, s9, 63
	v_mov_b32_dpp v5, v4 wave_shl:1 row_mask:0xf bank_mask:0xf bound_ctrl:1
	s_bitcmp1_b32 exec_hi, 0
	s_nop 0
	v_or_b32_dpp v4, v5, v4 row_mirror row_mask:0xf bank_mask:0xf bound_ctrl:1
	v_readlane_b32 s6, v4, 32
	v_readlane_b32 s8, v4, 0
	s_cselect_b32 s6, s6, 0
	s_or_b32 s8, s6, s8
	s_andn2_b32 s9, s9, 63
	s_cmp_eq_u32 s9, 64
	v_mov_b32_e32 v4, s8
	s_cbranch_scc1 .LBB2_17
; %bb.11:
	v_mad_u32_u24 v1, v2, s7, v1
	v_mad_u64_u32 v[1:2], s[6:7], v1, v3, v[0:1]
	v_lshrrev_b32_e32 v2, 6, v1
	v_or_b32_e32 v2, v2, v7
	v_cmp_eq_u32_e32 vcc, 0, v2
	s_and_saveexec_b64 s[6:7], vcc
; %bb.12:
	v_mov_b32_e32 v2, 0
	v_mov_b32_e32 v3, s8
	ds_write_b32 v2, v3 offset:256
; %bb.13:
	s_or_b64 exec, exec, s[6:7]
	v_cmp_eq_u32_e32 vcc, 0, v7
	v_cmp_lt_u32_e64 s[6:7], 63, v1
	s_and_b64 s[10:11], vcc, s[6:7]
	s_waitcnt lgkmcnt(0)
	s_barrier
	s_and_saveexec_b64 s[6:7], s[10:11]
	s_cbranch_execz .LBB2_16
; %bb.14:
	v_mbcnt_lo_u32_b32 v1, exec_lo, 0
	v_mbcnt_hi_u32_b32 v1, exec_hi, v1
	v_cmp_eq_u32_e32 vcc, 0, v1
	s_and_b64 exec, exec, vcc
; %bb.15:
	v_mov_b32_e32 v1, 0
	v_mov_b32_e32 v2, s8
	ds_or_b32 v1, v2 offset:256
.LBB2_16:
	s_or_b64 exec, exec, s[6:7]
	v_mov_b32_e32 v1, 0
	s_waitcnt lgkmcnt(0)
	s_barrier
	ds_read_b32 v4, v1 offset:256
	s_waitcnt lgkmcnt(0)
	s_barrier
.LBB2_17:
	v_cmp_eq_u32_e32 vcc, 0, v4
	s_cbranch_vccnz .LBB2_30
; %bb.18:
	v_mov_b32_e32 v1, -1
	v_cmp_gt_i32_e32 vcc, s22, v0
	v_mov_b32_e32 v2, -1
	v_mov_b32_e32 v3, -1
	v_mov_b32_e32 v4, 0x7fefffff
	buffer_wbinvl1_vol
	s_and_saveexec_b64 s[10:11], vcc
	s_cbranch_execz .LBB2_22
; %bb.19:
	v_lshlrev_b32_e32 v1, 3, v0
	v_mov_b32_e32 v2, s15
	v_add_co_u32_e32 v5, vcc, s14, v1
	v_addc_co_u32_e32 v6, vcc, 0, v2, vcc
	v_mov_b32_e32 v2, s17
	v_add_co_u32_e32 v7, vcc, s16, v1
	v_addc_co_u32_e32 v8, vcc, 0, v2, vcc
	v_mov_b32_e32 v1, -1
	v_mov_b32_e32 v2, -1
	s_mov_b64 s[14:15], 0
	v_mov_b32_e32 v16, v0
.LBB2_20:                               ; =>This Inner Loop Header: Depth=1
	global_load_dwordx2 v[17:18], v[5:6], off
	global_load_dwordx2 v[19:20], v[7:8], off
	v_add_co_u32_e32 v5, vcc, 0x800, v5
	v_add_u32_e32 v16, 0x100, v16
	v_addc_co_u32_e32 v6, vcc, 0, v6, vcc
	v_add_co_u32_e32 v7, vcc, 0x800, v7
	v_cmp_le_i32_e64 s[6:7], s22, v16
	v_addc_co_u32_e32 v8, vcc, 0, v8, vcc
	s_or_b64 s[14:15], s[6:7], s[14:15]
	s_waitcnt vmcnt(1)
	v_cmp_lt_f64_e64 s[8:9], v[17:18], v[3:4]
	v_cndmask_b32_e64 v4, v4, v18, s[8:9]
	v_cndmask_b32_e64 v3, v3, v17, s[8:9]
	s_waitcnt vmcnt(0)
	v_cndmask_b32_e64 v2, v2, v20, s[8:9]
	v_cndmask_b32_e64 v1, v1, v19, s[8:9]
	s_andn2_b64 exec, exec, s[14:15]
	s_cbranch_execnz .LBB2_20
; %bb.21:
	s_or_b64 exec, exec, s[14:15]
.LBB2_22:
	s_or_b64 exec, exec, s[10:11]
	ds_bpermute_b32 v5, v9, v3
	ds_bpermute_b32 v6, v9, v4
	;; [unrolled: 1-line block ×4, first 2 shown]
	s_waitcnt lgkmcnt(2)
	v_cmp_gt_f64_e32 vcc, v[3:4], v[5:6]
	v_cndmask_b32_e32 v4, v4, v6, vcc
	v_cndmask_b32_e32 v3, v3, v5, vcc
	ds_bpermute_b32 v6, v10, v4
	ds_bpermute_b32 v5, v10, v3
	s_waitcnt lgkmcnt(3)
	v_cndmask_b32_e32 v2, v2, v7, vcc
	ds_bpermute_b32 v7, v10, v2
	s_waitcnt lgkmcnt(3)
	v_cndmask_b32_e32 v8, v1, v8, vcc
	ds_bpermute_b32 v16, v10, v8
	s_waitcnt lgkmcnt(2)
	v_cmp_gt_f64_e64 s[6:7], v[3:4], v[5:6]
	v_cndmask_b32_e64 v4, v4, v6, s[6:7]
	v_cndmask_b32_e64 v3, v3, v5, s[6:7]
	ds_bpermute_b32 v6, v11, v4
	ds_bpermute_b32 v5, v11, v3
	s_waitcnt lgkmcnt(3)
	v_cndmask_b32_e64 v7, v2, v7, s[6:7]
	ds_bpermute_b32 v17, v11, v7
	s_waitcnt lgkmcnt(1)
	v_cmp_gt_f64_e64 s[8:9], v[3:4], v[5:6]
	v_cndmask_b32_e64 v4, v4, v6, s[8:9]
	v_cndmask_b32_e64 v3, v3, v5, s[8:9]
	ds_bpermute_b32 v6, v12, v4
	ds_bpermute_b32 v5, v12, v3
	s_waitcnt lgkmcnt(2)
	v_cndmask_b32_e64 v7, v7, v17, s[8:9]
	s_waitcnt lgkmcnt(0)
	v_cmp_gt_f64_e64 s[10:11], v[3:4], v[5:6]
	v_cndmask_b32_e64 v2, v4, v6, s[10:11]
	v_cndmask_b32_e64 v1, v3, v5, s[10:11]
	ds_bpermute_b32 v4, v14, v2
	ds_bpermute_b32 v3, v14, v1
	v_cndmask_b32_e64 v5, v8, v16, s[6:7]
	ds_bpermute_b32 v6, v11, v5
	ds_bpermute_b32 v8, v12, v7
	s_waitcnt lgkmcnt(2)
	v_cmp_gt_f64_e32 vcc, v[1:2], v[3:4]
	s_waitcnt lgkmcnt(1)
	v_cndmask_b32_e64 v5, v5, v6, s[8:9]
	ds_bpermute_b32 v6, v12, v5
	s_waitcnt lgkmcnt(1)
	v_cndmask_b32_e64 v7, v7, v8, s[10:11]
	v_cndmask_b32_e32 v2, v2, v4, vcc
	v_cndmask_b32_e32 v1, v1, v3, vcc
	ds_bpermute_b32 v4, v15, v2
	ds_bpermute_b32 v3, v15, v1
	s_waitcnt lgkmcnt(2)
	v_cndmask_b32_e64 v5, v5, v6, s[10:11]
	ds_bpermute_b32 v6, v14, v7
	ds_bpermute_b32 v8, v14, v5
	s_waitcnt lgkmcnt(2)
	v_cmp_gt_f64_e64 s[6:7], v[1:2], v[3:4]
	s_waitcnt lgkmcnt(1)
	v_cndmask_b32_e32 v6, v7, v6, vcc
	s_waitcnt lgkmcnt(0)
	v_cndmask_b32_e32 v5, v5, v8, vcc
	ds_bpermute_b32 v7, v15, v6
	ds_bpermute_b32 v8, v15, v5
	v_cndmask_b32_e64 v2, v2, v4, s[6:7]
	v_cndmask_b32_e64 v1, v1, v3, s[6:7]
	s_waitcnt lgkmcnt(1)
	v_cndmask_b32_e64 v4, v6, v7, s[6:7]
	s_waitcnt lgkmcnt(0)
	v_cndmask_b32_e64 v3, v5, v8, s[6:7]
	s_and_saveexec_b64 s[6:7], s[0:1]
; %bb.23:
	v_lshrrev_b32_e32 v0, 2, v0
	ds_write2_b64 v0, v[1:2], v[3:4] offset1:1
; %bb.24:
	s_or_b64 exec, exec, s[6:7]
	s_waitcnt lgkmcnt(0)
	s_barrier
	s_and_saveexec_b64 s[6:7], s[2:3]
	s_cbranch_execz .LBB2_28
; %bb.25:
	v_mov_b32_e32 v2, -1
	v_cmp_gt_u32_e32 vcc, 4, v13
	v_mov_b32_e32 v3, -1
	v_mov_b32_e32 v0, -1
	v_mov_b32_e32 v1, 0x7fefffff
	s_and_saveexec_b64 s[0:1], vcc
; %bb.26:
	v_lshlrev_b32_e32 v0, 4, v13
	ds_read_b128 v[0:3], v0
; %bb.27:
	s_or_b64 exec, exec, s[0:1]
	s_waitcnt lgkmcnt(0)
	ds_bpermute_b32 v6, v9, v1
	ds_bpermute_b32 v4, v9, v0
	;; [unrolled: 1-line block ×3, first 2 shown]
	s_waitcnt lgkmcnt(2)
	v_mov_b32_e32 v5, v6
	s_waitcnt lgkmcnt(1)
	v_cmp_gt_f64_e32 vcc, v[0:1], v[4:5]
	v_cndmask_b32_e32 v1, v1, v6, vcc
	ds_bpermute_b32 v6, v10, v1
	v_cndmask_b32_e32 v0, v0, v4, vcc
	ds_bpermute_b32 v4, v10, v0
	s_waitcnt lgkmcnt(2)
	v_cndmask_b32_e32 v2, v2, v7, vcc
	s_waitcnt lgkmcnt(1)
	v_mov_b32_e32 v5, v6
	s_waitcnt lgkmcnt(0)
	v_cmp_gt_f64_e64 s[0:1], v[0:1], v[4:5]
	ds_bpermute_b32 v5, v9, v3
	s_waitcnt lgkmcnt(0)
	v_cndmask_b32_e32 v3, v3, v5, vcc
	ds_bpermute_b32 v8, v10, v3
	v_cndmask_b32_e64 v1, v1, v6, s[0:1]
	ds_bpermute_b32 v6, v11, v1
	v_cndmask_b32_e64 v0, v0, v4, s[0:1]
	ds_bpermute_b32 v4, v11, v0
	s_waitcnt lgkmcnt(2)
	v_cndmask_b32_e64 v7, v3, v8, s[0:1]
	s_waitcnt lgkmcnt(1)
	v_mov_b32_e32 v5, v6
	s_waitcnt lgkmcnt(0)
	v_cmp_gt_f64_e64 s[2:3], v[0:1], v[4:5]
	ds_bpermute_b32 v5, v10, v2
	s_waitcnt lgkmcnt(0)
	v_cndmask_b32_e64 v2, v2, v5, s[0:1]
	ds_bpermute_b32 v5, v11, v7
	v_cndmask_b32_e64 v1, v1, v6, s[2:3]
	ds_bpermute_b32 v6, v12, v1
	;; [unrolled: 2-line block ×3, first 2 shown]
	ds_bpermute_b32 v8, v11, v2
	s_waitcnt lgkmcnt(2)
	v_mov_b32_e32 v4, v6
	s_waitcnt lgkmcnt(1)
	v_cmp_gt_f64_e32 vcc, v[0:1], v[3:4]
	v_cndmask_b32_e64 v4, v7, v5, s[2:3]
	s_waitcnt lgkmcnt(0)
	v_cndmask_b32_e64 v5, v2, v8, s[2:3]
	ds_bpermute_b32 v7, v12, v4
	ds_bpermute_b32 v8, v12, v5
	v_cndmask_b32_e32 v2, v1, v6, vcc
	v_cndmask_b32_e32 v1, v0, v3, vcc
	s_waitcnt lgkmcnt(1)
	v_cndmask_b32_e32 v4, v4, v7, vcc
	s_waitcnt lgkmcnt(0)
	v_cndmask_b32_e32 v3, v5, v8, vcc
.LBB2_28:
	s_or_b64 exec, exec, s[6:7]
	s_barrier
	s_and_saveexec_b64 s[0:1], s[4:5]
	s_cbranch_execz .LBB2_30
; %bb.29:
	v_mov_b32_e32 v0, 0
	global_store_dwordx4 v0, v[1:4], s[12:13]
.LBB2_30:
	s_endpgm
	.section	.rodata,"a",@progbits
	.p2align	6, 0x0
	.amdhsa_kernel _ZN4RAJA6policy3hip4impl18forallp_hip_kernelINS1_8hip_execINS_17iteration_mapping6DirectENS_3hip11IndexGlobalILNS_9named_dimE0ELi256ELi0EEENS7_40AvoidDeviceMaxThreadOccupancyConcretizerINS7_34FractionOffsetOccupancyConcretizerINS_8FractionImLm1ELm1EEELln1EEEEELb1EEENS_9Iterators16numeric_iteratorIllPlEEZN8rajaperf5lcals9FIRST_MIN26runHipVariantRAJANewReduceILm256ENSM_11gpu_mapping20global_direct_helperEEEvNSM_9VariantIDEEUllRNS_4expt5ValOpINST_6ValLocIdlEENS_9operators7minimumEEEE_lNST_15ForallParamPackIJNST_6detail7ReducerINSY_ISW_SW_SW_EESW_SZ_EEEEES6_SA_TnNSt9enable_ifIXaasr3std10is_base_ofINS5_10DirectBaseET4_EE5valuegtsrT5_10block_sizeLi0EEmE4typeELm256EEEvT1_T0_T2_T3_
		.amdhsa_group_segment_fixed_size 512
		.amdhsa_private_segment_fixed_size 0
		.amdhsa_kernarg_size 344
		.amdhsa_user_sgpr_count 6
		.amdhsa_user_sgpr_private_segment_buffer 1
		.amdhsa_user_sgpr_dispatch_ptr 0
		.amdhsa_user_sgpr_queue_ptr 0
		.amdhsa_user_sgpr_kernarg_segment_ptr 1
		.amdhsa_user_sgpr_dispatch_id 0
		.amdhsa_user_sgpr_flat_scratch_init 0
		.amdhsa_user_sgpr_private_segment_size 0
		.amdhsa_uses_dynamic_stack 0
		.amdhsa_system_sgpr_private_segment_wavefront_offset 0
		.amdhsa_system_sgpr_workgroup_id_x 1
		.amdhsa_system_sgpr_workgroup_id_y 0
		.amdhsa_system_sgpr_workgroup_id_z 0
		.amdhsa_system_sgpr_workgroup_info 0
		.amdhsa_system_vgpr_workitem_id 2
		.amdhsa_next_free_vgpr 21
		.amdhsa_next_free_sgpr 26
		.amdhsa_reserve_vcc 1
		.amdhsa_reserve_flat_scratch 0
		.amdhsa_float_round_mode_32 0
		.amdhsa_float_round_mode_16_64 0
		.amdhsa_float_denorm_mode_32 3
		.amdhsa_float_denorm_mode_16_64 3
		.amdhsa_dx10_clamp 1
		.amdhsa_ieee_mode 1
		.amdhsa_fp16_overflow 0
		.amdhsa_exception_fp_ieee_invalid_op 0
		.amdhsa_exception_fp_denorm_src 0
		.amdhsa_exception_fp_ieee_div_zero 0
		.amdhsa_exception_fp_ieee_overflow 0
		.amdhsa_exception_fp_ieee_underflow 0
		.amdhsa_exception_fp_ieee_inexact 0
		.amdhsa_exception_int_div_zero 0
	.end_amdhsa_kernel
	.section	.text._ZN4RAJA6policy3hip4impl18forallp_hip_kernelINS1_8hip_execINS_17iteration_mapping6DirectENS_3hip11IndexGlobalILNS_9named_dimE0ELi256ELi0EEENS7_40AvoidDeviceMaxThreadOccupancyConcretizerINS7_34FractionOffsetOccupancyConcretizerINS_8FractionImLm1ELm1EEELln1EEEEELb1EEENS_9Iterators16numeric_iteratorIllPlEEZN8rajaperf5lcals9FIRST_MIN26runHipVariantRAJANewReduceILm256ENSM_11gpu_mapping20global_direct_helperEEEvNSM_9VariantIDEEUllRNS_4expt5ValOpINST_6ValLocIdlEENS_9operators7minimumEEEE_lNST_15ForallParamPackIJNST_6detail7ReducerINSY_ISW_SW_SW_EESW_SZ_EEEEES6_SA_TnNSt9enable_ifIXaasr3std10is_base_ofINS5_10DirectBaseET4_EE5valuegtsrT5_10block_sizeLi0EEmE4typeELm256EEEvT1_T0_T2_T3_,"axG",@progbits,_ZN4RAJA6policy3hip4impl18forallp_hip_kernelINS1_8hip_execINS_17iteration_mapping6DirectENS_3hip11IndexGlobalILNS_9named_dimE0ELi256ELi0EEENS7_40AvoidDeviceMaxThreadOccupancyConcretizerINS7_34FractionOffsetOccupancyConcretizerINS_8FractionImLm1ELm1EEELln1EEEEELb1EEENS_9Iterators16numeric_iteratorIllPlEEZN8rajaperf5lcals9FIRST_MIN26runHipVariantRAJANewReduceILm256ENSM_11gpu_mapping20global_direct_helperEEEvNSM_9VariantIDEEUllRNS_4expt5ValOpINST_6ValLocIdlEENS_9operators7minimumEEEE_lNST_15ForallParamPackIJNST_6detail7ReducerINSY_ISW_SW_SW_EESW_SZ_EEEEES6_SA_TnNSt9enable_ifIXaasr3std10is_base_ofINS5_10DirectBaseET4_EE5valuegtsrT5_10block_sizeLi0EEmE4typeELm256EEEvT1_T0_T2_T3_,comdat
.Lfunc_end2:
	.size	_ZN4RAJA6policy3hip4impl18forallp_hip_kernelINS1_8hip_execINS_17iteration_mapping6DirectENS_3hip11IndexGlobalILNS_9named_dimE0ELi256ELi0EEENS7_40AvoidDeviceMaxThreadOccupancyConcretizerINS7_34FractionOffsetOccupancyConcretizerINS_8FractionImLm1ELm1EEELln1EEEEELb1EEENS_9Iterators16numeric_iteratorIllPlEEZN8rajaperf5lcals9FIRST_MIN26runHipVariantRAJANewReduceILm256ENSM_11gpu_mapping20global_direct_helperEEEvNSM_9VariantIDEEUllRNS_4expt5ValOpINST_6ValLocIdlEENS_9operators7minimumEEEE_lNST_15ForallParamPackIJNST_6detail7ReducerINSY_ISW_SW_SW_EESW_SZ_EEEEES6_SA_TnNSt9enable_ifIXaasr3std10is_base_ofINS5_10DirectBaseET4_EE5valuegtsrT5_10block_sizeLi0EEmE4typeELm256EEEvT1_T0_T2_T3_, .Lfunc_end2-_ZN4RAJA6policy3hip4impl18forallp_hip_kernelINS1_8hip_execINS_17iteration_mapping6DirectENS_3hip11IndexGlobalILNS_9named_dimE0ELi256ELi0EEENS7_40AvoidDeviceMaxThreadOccupancyConcretizerINS7_34FractionOffsetOccupancyConcretizerINS_8FractionImLm1ELm1EEELln1EEEEELb1EEENS_9Iterators16numeric_iteratorIllPlEEZN8rajaperf5lcals9FIRST_MIN26runHipVariantRAJANewReduceILm256ENSM_11gpu_mapping20global_direct_helperEEEvNSM_9VariantIDEEUllRNS_4expt5ValOpINST_6ValLocIdlEENS_9operators7minimumEEEE_lNST_15ForallParamPackIJNST_6detail7ReducerINSY_ISW_SW_SW_EESW_SZ_EEEEES6_SA_TnNSt9enable_ifIXaasr3std10is_base_ofINS5_10DirectBaseET4_EE5valuegtsrT5_10block_sizeLi0EEmE4typeELm256EEEvT1_T0_T2_T3_
                                        ; -- End function
	.set _ZN4RAJA6policy3hip4impl18forallp_hip_kernelINS1_8hip_execINS_17iteration_mapping6DirectENS_3hip11IndexGlobalILNS_9named_dimE0ELi256ELi0EEENS7_40AvoidDeviceMaxThreadOccupancyConcretizerINS7_34FractionOffsetOccupancyConcretizerINS_8FractionImLm1ELm1EEELln1EEEEELb1EEENS_9Iterators16numeric_iteratorIllPlEEZN8rajaperf5lcals9FIRST_MIN26runHipVariantRAJANewReduceILm256ENSM_11gpu_mapping20global_direct_helperEEEvNSM_9VariantIDEEUllRNS_4expt5ValOpINST_6ValLocIdlEENS_9operators7minimumEEEE_lNST_15ForallParamPackIJNST_6detail7ReducerINSY_ISW_SW_SW_EESW_SZ_EEEEES6_SA_TnNSt9enable_ifIXaasr3std10is_base_ofINS5_10DirectBaseET4_EE5valuegtsrT5_10block_sizeLi0EEmE4typeELm256EEEvT1_T0_T2_T3_.num_vgpr, 21
	.set _ZN4RAJA6policy3hip4impl18forallp_hip_kernelINS1_8hip_execINS_17iteration_mapping6DirectENS_3hip11IndexGlobalILNS_9named_dimE0ELi256ELi0EEENS7_40AvoidDeviceMaxThreadOccupancyConcretizerINS7_34FractionOffsetOccupancyConcretizerINS_8FractionImLm1ELm1EEELln1EEEEELb1EEENS_9Iterators16numeric_iteratorIllPlEEZN8rajaperf5lcals9FIRST_MIN26runHipVariantRAJANewReduceILm256ENSM_11gpu_mapping20global_direct_helperEEEvNSM_9VariantIDEEUllRNS_4expt5ValOpINST_6ValLocIdlEENS_9operators7minimumEEEE_lNST_15ForallParamPackIJNST_6detail7ReducerINSY_ISW_SW_SW_EESW_SZ_EEEEES6_SA_TnNSt9enable_ifIXaasr3std10is_base_ofINS5_10DirectBaseET4_EE5valuegtsrT5_10block_sizeLi0EEmE4typeELm256EEEvT1_T0_T2_T3_.num_agpr, 0
	.set _ZN4RAJA6policy3hip4impl18forallp_hip_kernelINS1_8hip_execINS_17iteration_mapping6DirectENS_3hip11IndexGlobalILNS_9named_dimE0ELi256ELi0EEENS7_40AvoidDeviceMaxThreadOccupancyConcretizerINS7_34FractionOffsetOccupancyConcretizerINS_8FractionImLm1ELm1EEELln1EEEEELb1EEENS_9Iterators16numeric_iteratorIllPlEEZN8rajaperf5lcals9FIRST_MIN26runHipVariantRAJANewReduceILm256ENSM_11gpu_mapping20global_direct_helperEEEvNSM_9VariantIDEEUllRNS_4expt5ValOpINST_6ValLocIdlEENS_9operators7minimumEEEE_lNST_15ForallParamPackIJNST_6detail7ReducerINSY_ISW_SW_SW_EESW_SZ_EEEEES6_SA_TnNSt9enable_ifIXaasr3std10is_base_ofINS5_10DirectBaseET4_EE5valuegtsrT5_10block_sizeLi0EEmE4typeELm256EEEvT1_T0_T2_T3_.numbered_sgpr, 26
	.set _ZN4RAJA6policy3hip4impl18forallp_hip_kernelINS1_8hip_execINS_17iteration_mapping6DirectENS_3hip11IndexGlobalILNS_9named_dimE0ELi256ELi0EEENS7_40AvoidDeviceMaxThreadOccupancyConcretizerINS7_34FractionOffsetOccupancyConcretizerINS_8FractionImLm1ELm1EEELln1EEEEELb1EEENS_9Iterators16numeric_iteratorIllPlEEZN8rajaperf5lcals9FIRST_MIN26runHipVariantRAJANewReduceILm256ENSM_11gpu_mapping20global_direct_helperEEEvNSM_9VariantIDEEUllRNS_4expt5ValOpINST_6ValLocIdlEENS_9operators7minimumEEEE_lNST_15ForallParamPackIJNST_6detail7ReducerINSY_ISW_SW_SW_EESW_SZ_EEEEES6_SA_TnNSt9enable_ifIXaasr3std10is_base_ofINS5_10DirectBaseET4_EE5valuegtsrT5_10block_sizeLi0EEmE4typeELm256EEEvT1_T0_T2_T3_.num_named_barrier, 0
	.set _ZN4RAJA6policy3hip4impl18forallp_hip_kernelINS1_8hip_execINS_17iteration_mapping6DirectENS_3hip11IndexGlobalILNS_9named_dimE0ELi256ELi0EEENS7_40AvoidDeviceMaxThreadOccupancyConcretizerINS7_34FractionOffsetOccupancyConcretizerINS_8FractionImLm1ELm1EEELln1EEEEELb1EEENS_9Iterators16numeric_iteratorIllPlEEZN8rajaperf5lcals9FIRST_MIN26runHipVariantRAJANewReduceILm256ENSM_11gpu_mapping20global_direct_helperEEEvNSM_9VariantIDEEUllRNS_4expt5ValOpINST_6ValLocIdlEENS_9operators7minimumEEEE_lNST_15ForallParamPackIJNST_6detail7ReducerINSY_ISW_SW_SW_EESW_SZ_EEEEES6_SA_TnNSt9enable_ifIXaasr3std10is_base_ofINS5_10DirectBaseET4_EE5valuegtsrT5_10block_sizeLi0EEmE4typeELm256EEEvT1_T0_T2_T3_.private_seg_size, 0
	.set _ZN4RAJA6policy3hip4impl18forallp_hip_kernelINS1_8hip_execINS_17iteration_mapping6DirectENS_3hip11IndexGlobalILNS_9named_dimE0ELi256ELi0EEENS7_40AvoidDeviceMaxThreadOccupancyConcretizerINS7_34FractionOffsetOccupancyConcretizerINS_8FractionImLm1ELm1EEELln1EEEEELb1EEENS_9Iterators16numeric_iteratorIllPlEEZN8rajaperf5lcals9FIRST_MIN26runHipVariantRAJANewReduceILm256ENSM_11gpu_mapping20global_direct_helperEEEvNSM_9VariantIDEEUllRNS_4expt5ValOpINST_6ValLocIdlEENS_9operators7minimumEEEE_lNST_15ForallParamPackIJNST_6detail7ReducerINSY_ISW_SW_SW_EESW_SZ_EEEEES6_SA_TnNSt9enable_ifIXaasr3std10is_base_ofINS5_10DirectBaseET4_EE5valuegtsrT5_10block_sizeLi0EEmE4typeELm256EEEvT1_T0_T2_T3_.uses_vcc, 1
	.set _ZN4RAJA6policy3hip4impl18forallp_hip_kernelINS1_8hip_execINS_17iteration_mapping6DirectENS_3hip11IndexGlobalILNS_9named_dimE0ELi256ELi0EEENS7_40AvoidDeviceMaxThreadOccupancyConcretizerINS7_34FractionOffsetOccupancyConcretizerINS_8FractionImLm1ELm1EEELln1EEEEELb1EEENS_9Iterators16numeric_iteratorIllPlEEZN8rajaperf5lcals9FIRST_MIN26runHipVariantRAJANewReduceILm256ENSM_11gpu_mapping20global_direct_helperEEEvNSM_9VariantIDEEUllRNS_4expt5ValOpINST_6ValLocIdlEENS_9operators7minimumEEEE_lNST_15ForallParamPackIJNST_6detail7ReducerINSY_ISW_SW_SW_EESW_SZ_EEEEES6_SA_TnNSt9enable_ifIXaasr3std10is_base_ofINS5_10DirectBaseET4_EE5valuegtsrT5_10block_sizeLi0EEmE4typeELm256EEEvT1_T0_T2_T3_.uses_flat_scratch, 0
	.set _ZN4RAJA6policy3hip4impl18forallp_hip_kernelINS1_8hip_execINS_17iteration_mapping6DirectENS_3hip11IndexGlobalILNS_9named_dimE0ELi256ELi0EEENS7_40AvoidDeviceMaxThreadOccupancyConcretizerINS7_34FractionOffsetOccupancyConcretizerINS_8FractionImLm1ELm1EEELln1EEEEELb1EEENS_9Iterators16numeric_iteratorIllPlEEZN8rajaperf5lcals9FIRST_MIN26runHipVariantRAJANewReduceILm256ENSM_11gpu_mapping20global_direct_helperEEEvNSM_9VariantIDEEUllRNS_4expt5ValOpINST_6ValLocIdlEENS_9operators7minimumEEEE_lNST_15ForallParamPackIJNST_6detail7ReducerINSY_ISW_SW_SW_EESW_SZ_EEEEES6_SA_TnNSt9enable_ifIXaasr3std10is_base_ofINS5_10DirectBaseET4_EE5valuegtsrT5_10block_sizeLi0EEmE4typeELm256EEEvT1_T0_T2_T3_.has_dyn_sized_stack, 0
	.set _ZN4RAJA6policy3hip4impl18forallp_hip_kernelINS1_8hip_execINS_17iteration_mapping6DirectENS_3hip11IndexGlobalILNS_9named_dimE0ELi256ELi0EEENS7_40AvoidDeviceMaxThreadOccupancyConcretizerINS7_34FractionOffsetOccupancyConcretizerINS_8FractionImLm1ELm1EEELln1EEEEELb1EEENS_9Iterators16numeric_iteratorIllPlEEZN8rajaperf5lcals9FIRST_MIN26runHipVariantRAJANewReduceILm256ENSM_11gpu_mapping20global_direct_helperEEEvNSM_9VariantIDEEUllRNS_4expt5ValOpINST_6ValLocIdlEENS_9operators7minimumEEEE_lNST_15ForallParamPackIJNST_6detail7ReducerINSY_ISW_SW_SW_EESW_SZ_EEEEES6_SA_TnNSt9enable_ifIXaasr3std10is_base_ofINS5_10DirectBaseET4_EE5valuegtsrT5_10block_sizeLi0EEmE4typeELm256EEEvT1_T0_T2_T3_.has_recursion, 0
	.set _ZN4RAJA6policy3hip4impl18forallp_hip_kernelINS1_8hip_execINS_17iteration_mapping6DirectENS_3hip11IndexGlobalILNS_9named_dimE0ELi256ELi0EEENS7_40AvoidDeviceMaxThreadOccupancyConcretizerINS7_34FractionOffsetOccupancyConcretizerINS_8FractionImLm1ELm1EEELln1EEEEELb1EEENS_9Iterators16numeric_iteratorIllPlEEZN8rajaperf5lcals9FIRST_MIN26runHipVariantRAJANewReduceILm256ENSM_11gpu_mapping20global_direct_helperEEEvNSM_9VariantIDEEUllRNS_4expt5ValOpINST_6ValLocIdlEENS_9operators7minimumEEEE_lNST_15ForallParamPackIJNST_6detail7ReducerINSY_ISW_SW_SW_EESW_SZ_EEEEES6_SA_TnNSt9enable_ifIXaasr3std10is_base_ofINS5_10DirectBaseET4_EE5valuegtsrT5_10block_sizeLi0EEmE4typeELm256EEEvT1_T0_T2_T3_.has_indirect_call, 0
	.section	.AMDGPU.csdata,"",@progbits
; Kernel info:
; codeLenInByte = 2788
; TotalNumSgprs: 30
; NumVgprs: 21
; ScratchSize: 0
; MemoryBound: 0
; FloatMode: 240
; IeeeMode: 1
; LDSByteSize: 512 bytes/workgroup (compile time only)
; SGPRBlocks: 3
; VGPRBlocks: 5
; NumSGPRsForWavesPerEU: 30
; NumVGPRsForWavesPerEU: 21
; Occupancy: 10
; WaveLimiterHint : 0
; COMPUTE_PGM_RSRC2:SCRATCH_EN: 0
; COMPUTE_PGM_RSRC2:USER_SGPR: 6
; COMPUTE_PGM_RSRC2:TRAP_HANDLER: 0
; COMPUTE_PGM_RSRC2:TGID_X_EN: 1
; COMPUTE_PGM_RSRC2:TGID_Y_EN: 0
; COMPUTE_PGM_RSRC2:TGID_Z_EN: 0
; COMPUTE_PGM_RSRC2:TIDIG_COMP_CNT: 2
	.section	.text._ZN4RAJA6policy3hip4impl18forallp_hip_kernelINS1_8hip_execINS_17iteration_mapping11StridedLoopILm0EEENS_3hip11IndexGlobalILNS_9named_dimE0ELi256ELi0EEENS8_40AvoidDeviceMaxThreadOccupancyConcretizerINS8_34FractionOffsetOccupancyConcretizerINS_8FractionImLm1ELm1EEELln1EEEEELb1EEENS_9Iterators16numeric_iteratorIllPlEEZN8rajaperf5lcals9FIRST_MIN17runHipVariantRAJAILm256ENSN_11gpu_mapping40global_loop_occupancy_grid_stride_helperEEEvNSN_9VariantIDEEUllE_lNS_4expt15ForallParamPackIJEEES7_SB_TnNSt9enable_ifIXaaaasr3std10is_base_ofINS5_15StridedLoopBaseET4_EE5valuesr3std10is_base_ofINS5_15UnsizedLoopBaseES10_EE5valuegtsrT5_10block_sizeLi0EEmE4typeELm256EEEvT1_T0_T2_T3_,"axG",@progbits,_ZN4RAJA6policy3hip4impl18forallp_hip_kernelINS1_8hip_execINS_17iteration_mapping11StridedLoopILm0EEENS_3hip11IndexGlobalILNS_9named_dimE0ELi256ELi0EEENS8_40AvoidDeviceMaxThreadOccupancyConcretizerINS8_34FractionOffsetOccupancyConcretizerINS_8FractionImLm1ELm1EEELln1EEEEELb1EEENS_9Iterators16numeric_iteratorIllPlEEZN8rajaperf5lcals9FIRST_MIN17runHipVariantRAJAILm256ENSN_11gpu_mapping40global_loop_occupancy_grid_stride_helperEEEvNSN_9VariantIDEEUllE_lNS_4expt15ForallParamPackIJEEES7_SB_TnNSt9enable_ifIXaaaasr3std10is_base_ofINS5_15StridedLoopBaseET4_EE5valuesr3std10is_base_ofINS5_15UnsizedLoopBaseES10_EE5valuegtsrT5_10block_sizeLi0EEmE4typeELm256EEEvT1_T0_T2_T3_,comdat
	.protected	_ZN4RAJA6policy3hip4impl18forallp_hip_kernelINS1_8hip_execINS_17iteration_mapping11StridedLoopILm0EEENS_3hip11IndexGlobalILNS_9named_dimE0ELi256ELi0EEENS8_40AvoidDeviceMaxThreadOccupancyConcretizerINS8_34FractionOffsetOccupancyConcretizerINS_8FractionImLm1ELm1EEELln1EEEEELb1EEENS_9Iterators16numeric_iteratorIllPlEEZN8rajaperf5lcals9FIRST_MIN17runHipVariantRAJAILm256ENSN_11gpu_mapping40global_loop_occupancy_grid_stride_helperEEEvNSN_9VariantIDEEUllE_lNS_4expt15ForallParamPackIJEEES7_SB_TnNSt9enable_ifIXaaaasr3std10is_base_ofINS5_15StridedLoopBaseET4_EE5valuesr3std10is_base_ofINS5_15UnsizedLoopBaseES10_EE5valuegtsrT5_10block_sizeLi0EEmE4typeELm256EEEvT1_T0_T2_T3_ ; -- Begin function _ZN4RAJA6policy3hip4impl18forallp_hip_kernelINS1_8hip_execINS_17iteration_mapping11StridedLoopILm0EEENS_3hip11IndexGlobalILNS_9named_dimE0ELi256ELi0EEENS8_40AvoidDeviceMaxThreadOccupancyConcretizerINS8_34FractionOffsetOccupancyConcretizerINS_8FractionImLm1ELm1EEELln1EEEEELb1EEENS_9Iterators16numeric_iteratorIllPlEEZN8rajaperf5lcals9FIRST_MIN17runHipVariantRAJAILm256ENSN_11gpu_mapping40global_loop_occupancy_grid_stride_helperEEEvNSN_9VariantIDEEUllE_lNS_4expt15ForallParamPackIJEEES7_SB_TnNSt9enable_ifIXaaaasr3std10is_base_ofINS5_15StridedLoopBaseET4_EE5valuesr3std10is_base_ofINS5_15UnsizedLoopBaseES10_EE5valuegtsrT5_10block_sizeLi0EEmE4typeELm256EEEvT1_T0_T2_T3_
	.globl	_ZN4RAJA6policy3hip4impl18forallp_hip_kernelINS1_8hip_execINS_17iteration_mapping11StridedLoopILm0EEENS_3hip11IndexGlobalILNS_9named_dimE0ELi256ELi0EEENS8_40AvoidDeviceMaxThreadOccupancyConcretizerINS8_34FractionOffsetOccupancyConcretizerINS_8FractionImLm1ELm1EEELln1EEEEELb1EEENS_9Iterators16numeric_iteratorIllPlEEZN8rajaperf5lcals9FIRST_MIN17runHipVariantRAJAILm256ENSN_11gpu_mapping40global_loop_occupancy_grid_stride_helperEEEvNSN_9VariantIDEEUllE_lNS_4expt15ForallParamPackIJEEES7_SB_TnNSt9enable_ifIXaaaasr3std10is_base_ofINS5_15StridedLoopBaseET4_EE5valuesr3std10is_base_ofINS5_15UnsizedLoopBaseES10_EE5valuegtsrT5_10block_sizeLi0EEmE4typeELm256EEEvT1_T0_T2_T3_
	.p2align	8
	.type	_ZN4RAJA6policy3hip4impl18forallp_hip_kernelINS1_8hip_execINS_17iteration_mapping11StridedLoopILm0EEENS_3hip11IndexGlobalILNS_9named_dimE0ELi256ELi0EEENS8_40AvoidDeviceMaxThreadOccupancyConcretizerINS8_34FractionOffsetOccupancyConcretizerINS_8FractionImLm1ELm1EEELln1EEEEELb1EEENS_9Iterators16numeric_iteratorIllPlEEZN8rajaperf5lcals9FIRST_MIN17runHipVariantRAJAILm256ENSN_11gpu_mapping40global_loop_occupancy_grid_stride_helperEEEvNSN_9VariantIDEEUllE_lNS_4expt15ForallParamPackIJEEES7_SB_TnNSt9enable_ifIXaaaasr3std10is_base_ofINS5_15StridedLoopBaseET4_EE5valuesr3std10is_base_ofINS5_15UnsizedLoopBaseES10_EE5valuegtsrT5_10block_sizeLi0EEmE4typeELm256EEEvT1_T0_T2_T3_,@function
_ZN4RAJA6policy3hip4impl18forallp_hip_kernelINS1_8hip_execINS_17iteration_mapping11StridedLoopILm0EEENS_3hip11IndexGlobalILNS_9named_dimE0ELi256ELi0EEENS8_40AvoidDeviceMaxThreadOccupancyConcretizerINS8_34FractionOffsetOccupancyConcretizerINS_8FractionImLm1ELm1EEELln1EEEEELb1EEENS_9Iterators16numeric_iteratorIllPlEEZN8rajaperf5lcals9FIRST_MIN17runHipVariantRAJAILm256ENSN_11gpu_mapping40global_loop_occupancy_grid_stride_helperEEEvNSN_9VariantIDEEUllE_lNS_4expt15ForallParamPackIJEEES7_SB_TnNSt9enable_ifIXaaaasr3std10is_base_ofINS5_15StridedLoopBaseET4_EE5valuesr3std10is_base_ofINS5_15UnsizedLoopBaseES10_EE5valuegtsrT5_10block_sizeLi0EEmE4typeELm256EEEvT1_T0_T2_T3_: ; @_ZN4RAJA6policy3hip4impl18forallp_hip_kernelINS1_8hip_execINS_17iteration_mapping11StridedLoopILm0EEENS_3hip11IndexGlobalILNS_9named_dimE0ELi256ELi0EEENS8_40AvoidDeviceMaxThreadOccupancyConcretizerINS8_34FractionOffsetOccupancyConcretizerINS_8FractionImLm1ELm1EEELln1EEEEELb1EEENS_9Iterators16numeric_iteratorIllPlEEZN8rajaperf5lcals9FIRST_MIN17runHipVariantRAJAILm256ENSN_11gpu_mapping40global_loop_occupancy_grid_stride_helperEEEvNSN_9VariantIDEEUllE_lNS_4expt15ForallParamPackIJEEES7_SB_TnNSt9enable_ifIXaaaasr3std10is_base_ofINS5_15StridedLoopBaseET4_EE5valuesr3std10is_base_ofINS5_15UnsizedLoopBaseES10_EE5valuegtsrT5_10block_sizeLi0EEmE4typeELm256EEEvT1_T0_T2_T3_
; %bb.0:
	s_load_dwordx8 s[12:19], s[4:5], 0x20
	s_load_dwordx2 s[24:25], s[4:5], 0x60
	s_load_dwordx2 s[10:11], s[4:5], 0x40
	s_mov_b32 s0, s7
	s_mov_b32 s7, 0
	s_lshl_b64 s[2:3], s[6:7], 8
	v_or_b32_e32 v8, s2, v0
	v_mov_b32_e32 v9, s3
	s_waitcnt lgkmcnt(0)
	v_cmp_gt_i64_e32 vcc, s[24:25], v[8:9]
	v_mov_b32_e32 v4, s12
	v_mov_b32_e32 v6, s14
	;; [unrolled: 1-line block ×4, first 2 shown]
	s_and_saveexec_b64 s[26:27], vcc
	s_cbranch_execz .LBB3_4
; %bb.1:
	s_load_dword s2, s[4:5], 0x70
	s_load_dwordx4 s[20:23], s[4:5], 0x50
	s_mov_b32 s3, s7
	v_mov_b32_e32 v4, s12
	v_mov_b32_e32 v6, s14
	s_waitcnt lgkmcnt(0)
	s_lshl_b64 s[30:31], s[2:3], 8
	s_mov_b64 s[28:29], 0
	v_mov_b32_e32 v5, s13
	v_mov_b32_e32 v7, s15
	;; [unrolled: 1-line block ×5, first 2 shown]
.LBB3_2:                                ; =>This Inner Loop Header: Depth=1
	v_add_co_u32_e32 v12, vcc, s22, v8
	v_addc_co_u32_e32 v13, vcc, v9, v3, vcc
	v_lshlrev_b64 v[14:15], 3, v[12:13]
	v_add_co_u32_e32 v14, vcc, s20, v14
	v_addc_co_u32_e32 v15, vcc, v10, v15, vcc
	global_load_dwordx2 v[14:15], v[14:15], off
	v_add_co_u32_e32 v8, vcc, s30, v8
	v_addc_co_u32_e32 v9, vcc, v11, v9, vcc
	v_cmp_le_i64_e32 vcc, s[24:25], v[8:9]
	s_or_b64 s[28:29], vcc, s[28:29]
	s_waitcnt vmcnt(0)
	v_cmp_lt_f64_e64 s[2:3], v[14:15], v[4:5]
	v_cndmask_b32_e64 v5, v5, v15, s[2:3]
	v_cndmask_b32_e64 v4, v4, v14, s[2:3]
	;; [unrolled: 1-line block ×4, first 2 shown]
	s_andn2_b64 exec, exec, s[28:29]
	s_cbranch_execnz .LBB3_2
; %bb.3:
	s_or_b64 exec, exec, s[28:29]
.LBB3_4:
	s_or_b64 exec, exec, s[26:27]
	s_load_dwordx4 s[20:23], s[4:5], 0x0
	s_waitcnt lgkmcnt(0)
	s_cmp_lg_u64 s[20:21], 0
	s_cbranch_scc0 .LBB3_6
.LBB3_5:
	s_endpgm
.LBB3_6:
	s_load_dwordx2 s[26:27], s[4:5], 0x70
	s_load_dword s1, s[4:5], 0x78
	s_add_u32 s2, s4, 0x70
	s_addc_u32 s3, s5, 0
	v_mov_b32_e32 v3, 0
	global_load_dword v8, v3, s[4:5] offset:126
	s_waitcnt lgkmcnt(0)
	s_cmp_lt_u32 s6, s26
	s_cselect_b32 s4, 12, 18
	s_add_u32 s2, s2, s4
	s_addc_u32 s3, s3, 0
	global_load_ushort v3, v3, s[2:3]
	v_mbcnt_lo_u32_b32 v9, -1, 0
	v_mbcnt_hi_u32_b32 v23, -1, v9
	s_waitcnt vmcnt(1)
	v_readfirstlane_b32 s2, v8
	s_lshr_b32 s3, s2, 16
	s_and_b32 s2, s2, 0xffff
	s_waitcnt vmcnt(0)
	v_readfirstlane_b32 s4, v3
	s_mul_i32 s2, s2, s4
	v_mul_lo_u32 v2, s2, v2
	s_mul_i32 s4, s2, s3
	s_ashr_i32 s5, s4, 31
	s_and_b32 s2, s4, 63
	v_mul_u32_u24_e32 v1, v1, v3
	s_cmp_lg_u32 s2, 0
	s_cselect_b64 s[20:21], -1, 0
	s_cmp_eq_u32 s2, 0
	v_add3_u32 v24, v1, v0, v2
	s_cbranch_scc1 .LBB3_68
; %bb.7:
	v_and_b32_e32 v14, 64, v23
	v_xor_b32_e32 v0, 1, v24
	v_and_or_b32 v1, v0, 63, v14
	v_lshlrev_b32_e32 v1, 2, v1
	ds_bpermute_b32 v2, v1, v4
	ds_bpermute_b32 v3, v1, v5
	;; [unrolled: 1-line block ×4, first 2 shown]
	v_mov_b32_e32 v11, v5
	v_mov_b32_e32 v9, v7
	v_cmp_gt_i32_e32 vcc, s4, v0
	v_mov_b32_e32 v13, v7
	v_mov_b32_e32 v12, v6
	v_mov_b32_e32 v10, v4
	v_mov_b32_e32 v8, v6
	v_mov_b32_e32 v1, v5
	v_mov_b32_e32 v0, v4
	s_and_saveexec_b64 s[2:3], vcc
	s_cbranch_execz .LBB3_9
; %bb.8:
	s_waitcnt lgkmcnt(2)
	v_and_b32_e32 v0, 0xffffff00, v3
	v_or_b32_sdwa v3, v3, v0 dst_sel:DWORD dst_unused:UNUSED_PAD src0_sel:BYTE_0 src1_sel:DWORD
	v_cmp_gt_f64_e32 vcc, v[4:5], v[2:3]
	s_waitcnt lgkmcnt(0)
	v_and_b32_e32 v0, 0xffffff00, v16
	v_or_b32_sdwa v0, v16, v0 dst_sel:DWORD dst_unused:UNUSED_PAD src0_sel:BYTE_0 src1_sel:DWORD
	v_cndmask_b32_e32 v12, v6, v15, vcc
	v_cndmask_b32_e32 v11, v5, v3, vcc
	;; [unrolled: 1-line block ×4, first 2 shown]
	v_mov_b32_e32 v8, v12
	v_mov_b32_e32 v1, v11
	v_mov_b32_e32 v9, v13
	v_mov_b32_e32 v0, v10
.LBB3_9:
	s_or_b64 exec, exec, s[2:3]
	s_waitcnt lgkmcnt(1)
	v_xor_b32_e32 v15, 2, v24
	v_and_or_b32 v2, v15, 63, v14
	s_waitcnt lgkmcnt(0)
	v_lshlrev_b32_e32 v16, 2, v2
	ds_bpermute_b32 v2, v16, v0
	ds_bpermute_b32 v3, v16, v1
	;; [unrolled: 1-line block ×4, first 2 shown]
	v_cmp_gt_i32_e32 vcc, s4, v15
	s_and_saveexec_b64 s[2:3], vcc
	s_cbranch_execz .LBB3_11
; %bb.10:
	s_waitcnt lgkmcnt(2)
	v_and_b32_e32 v0, 0xffffff00, v3
	v_or_b32_sdwa v3, v3, v0 dst_sel:DWORD dst_unused:UNUSED_PAD src0_sel:BYTE_0 src1_sel:DWORD
	v_cmp_gt_f64_e32 vcc, v[10:11], v[2:3]
	s_waitcnt lgkmcnt(0)
	v_and_b32_e32 v0, 0xffffff00, v13
	v_or_b32_sdwa v0, v13, v0 dst_sel:DWORD dst_unused:UNUSED_PAD src0_sel:BYTE_0 src1_sel:DWORD
	v_cndmask_b32_e32 v11, v11, v3, vcc
	v_cndmask_b32_e32 v10, v10, v2, vcc
	v_cndmask_b32_e32 v9, v9, v0, vcc
	v_cndmask_b32_e32 v8, v8, v12, vcc
	v_mov_b32_e32 v1, v11
	v_mov_b32_e32 v0, v10
.LBB3_11:
	s_or_b64 exec, exec, s[2:3]
	v_xor_b32_e32 v15, 4, v24
	s_waitcnt lgkmcnt(3)
	v_and_or_b32 v2, v15, 63, v14
	s_waitcnt lgkmcnt(0)
	v_lshlrev_b32_e32 v13, 2, v2
	ds_bpermute_b32 v2, v13, v0
	ds_bpermute_b32 v3, v13, v1
	ds_bpermute_b32 v12, v13, v8
	ds_bpermute_b32 v13, v13, v9
	v_cmp_gt_i32_e32 vcc, s4, v15
	s_and_saveexec_b64 s[2:3], vcc
	s_cbranch_execz .LBB3_13
; %bb.12:
	s_waitcnt lgkmcnt(2)
	v_and_b32_e32 v0, 0xffffff00, v3
	v_or_b32_sdwa v3, v3, v0 dst_sel:DWORD dst_unused:UNUSED_PAD src0_sel:BYTE_0 src1_sel:DWORD
	v_cmp_gt_f64_e32 vcc, v[10:11], v[2:3]
	s_waitcnt lgkmcnt(0)
	v_and_b32_e32 v0, 0xffffff00, v13
	v_or_b32_sdwa v13, v13, v0 dst_sel:DWORD dst_unused:UNUSED_PAD src0_sel:BYTE_0 src1_sel:DWORD
	v_cndmask_b32_e32 v1, v11, v3, vcc
	v_cndmask_b32_e32 v0, v10, v2, vcc
	v_mov_b32_e32 v11, v1
	v_cndmask_b32_e32 v9, v9, v13, vcc
	v_cndmask_b32_e32 v8, v8, v12, vcc
	v_mov_b32_e32 v10, v0
.LBB3_13:
	s_or_b64 exec, exec, s[2:3]
	v_xor_b32_e32 v15, 8, v24
	s_waitcnt lgkmcnt(3)
	v_and_or_b32 v2, v15, 63, v14
	s_waitcnt lgkmcnt(0)
	v_lshlrev_b32_e32 v13, 2, v2
	ds_bpermute_b32 v2, v13, v0
	ds_bpermute_b32 v3, v13, v1
	ds_bpermute_b32 v12, v13, v8
	ds_bpermute_b32 v13, v13, v9
	v_cmp_gt_i32_e32 vcc, s4, v15
	s_and_saveexec_b64 s[2:3], vcc
	s_cbranch_execz .LBB3_15
; %bb.14:
	s_waitcnt lgkmcnt(2)
	v_and_b32_e32 v0, 0xffffff00, v3
	v_or_b32_sdwa v3, v3, v0 dst_sel:DWORD dst_unused:UNUSED_PAD src0_sel:BYTE_0 src1_sel:DWORD
	v_cmp_gt_f64_e32 vcc, v[10:11], v[2:3]
	s_waitcnt lgkmcnt(0)
	v_and_b32_e32 v0, 0xffffff00, v13
	v_or_b32_sdwa v13, v13, v0 dst_sel:DWORD dst_unused:UNUSED_PAD src0_sel:BYTE_0 src1_sel:DWORD
	v_cndmask_b32_e32 v1, v11, v3, vcc
	v_cndmask_b32_e32 v0, v10, v2, vcc
	v_mov_b32_e32 v11, v1
	v_cndmask_b32_e32 v9, v9, v13, vcc
	v_cndmask_b32_e32 v8, v8, v12, vcc
	v_mov_b32_e32 v10, v0
.LBB3_15:
	;; [unrolled: 28-line block ×3, first 2 shown]
	s_or_b64 exec, exec, s[2:3]
	s_waitcnt lgkmcnt(1)
	v_xor_b32_e32 v12, 32, v24
	v_and_or_b32 v2, v12, 63, v14
	v_lshlrev_b32_e32 v3, 2, v2
	ds_bpermute_b32 v0, v3, v0
	ds_bpermute_b32 v1, v3, v1
	;; [unrolled: 1-line block ×4, first 2 shown]
	v_cmp_gt_i32_e32 vcc, s4, v12
	s_and_saveexec_b64 s[2:3], vcc
	s_cbranch_execz .LBB3_19
; %bb.18:
	s_waitcnt lgkmcnt(2)
	v_and_b32_e32 v12, 0xffffff00, v1
	v_or_b32_sdwa v1, v1, v12 dst_sel:DWORD dst_unused:UNUSED_PAD src0_sel:BYTE_0 src1_sel:DWORD
	v_cmp_gt_f64_e32 vcc, v[10:11], v[0:1]
	s_waitcnt lgkmcnt(0)
	v_and_b32_e32 v12, 0xffffff00, v3
	v_or_b32_sdwa v3, v3, v12 dst_sel:DWORD dst_unused:UNUSED_PAD src0_sel:BYTE_0 src1_sel:DWORD
	v_cndmask_b32_e32 v11, v11, v1, vcc
	v_cndmask_b32_e32 v10, v10, v0, vcc
	;; [unrolled: 1-line block ×4, first 2 shown]
.LBB3_19:
	s_or_b64 exec, exec, s[2:3]
	s_branch .LBB3_21
.LBB3_20:
	s_waitcnt lgkmcnt(3)
	v_and_b32_e32 v0, 64, v23
	v_add_u32_e32 v8, 64, v0
	v_xor_b32_e32 v0, 1, v23
	v_cmp_lt_i32_e32 vcc, v0, v8
	v_cndmask_b32_e32 v0, v23, v0, vcc
	s_waitcnt lgkmcnt(2)
	v_lshlrev_b32_e32 v1, 2, v0
	s_waitcnt lgkmcnt(1)
	ds_bpermute_b32 v2, v1, v5
	ds_bpermute_b32 v0, v1, v4
	s_waitcnt lgkmcnt(2)
	ds_bpermute_b32 v3, v1, v7
	ds_bpermute_b32 v9, v1, v6
	s_waitcnt lgkmcnt(3)
	v_and_b32_e32 v1, 0xffffff00, v2
	v_or_b32_sdwa v1, v2, v1 dst_sel:DWORD dst_unused:UNUSED_PAD src0_sel:BYTE_0 src1_sel:DWORD
	s_waitcnt lgkmcnt(2)
	v_cmp_gt_f64_e32 vcc, v[4:5], v[0:1]
	s_waitcnt lgkmcnt(1)
	v_and_b32_e32 v2, 0xffffff00, v3
	v_or_b32_sdwa v3, v3, v2 dst_sel:DWORD dst_unused:UNUSED_PAD src0_sel:BYTE_0 src1_sel:DWORD
	v_xor_b32_e32 v2, 2, v23
	v_cmp_lt_i32_e64 s[2:3], v2, v8
	v_cndmask_b32_e64 v2, v23, v2, s[2:3]
	v_lshlrev_b32_e32 v10, 2, v2
	v_cndmask_b32_e32 v1, v5, v1, vcc
	ds_bpermute_b32 v11, v10, v1
	v_cndmask_b32_e32 v0, v4, v0, vcc
	ds_bpermute_b32 v2, v10, v0
	;; [unrolled: 2-line block ×3, first 2 shown]
	s_waitcnt lgkmcnt(2)
	v_and_b32_e32 v3, 0xffffff00, v11
	v_or_b32_sdwa v3, v11, v3 dst_sel:DWORD dst_unused:UNUSED_PAD src0_sel:BYTE_0 src1_sel:DWORD
	s_waitcnt lgkmcnt(1)
	v_cmp_gt_f64_e64 s[2:3], v[0:1], v[2:3]
	v_cndmask_b32_e32 v9, v6, v9, vcc
	s_waitcnt lgkmcnt(0)
	v_and_b32_e32 v11, 0xffffff00, v13
	ds_bpermute_b32 v10, v10, v9
	v_cndmask_b32_e64 v0, v0, v2, s[2:3]
	v_xor_b32_e32 v2, 4, v23
	v_cmp_lt_i32_e32 vcc, v2, v8
	v_cndmask_b32_e64 v1, v1, v3, s[2:3]
	v_or_b32_sdwa v3, v13, v11 dst_sel:DWORD dst_unused:UNUSED_PAD src0_sel:BYTE_0 src1_sel:DWORD
	v_cndmask_b32_e32 v2, v23, v2, vcc
	v_cndmask_b32_e64 v11, v12, v3, s[2:3]
	v_lshlrev_b32_e32 v3, 2, v2
	ds_bpermute_b32 v12, v3, v1
	ds_bpermute_b32 v2, v3, v0
	s_waitcnt lgkmcnt(2)
	v_cndmask_b32_e64 v9, v9, v10, s[2:3]
	ds_bpermute_b32 v10, v3, v11
	ds_bpermute_b32 v13, v3, v9
	s_waitcnt lgkmcnt(3)
	v_and_b32_e32 v3, 0xffffff00, v12
	v_or_b32_sdwa v3, v12, v3 dst_sel:DWORD dst_unused:UNUSED_PAD src0_sel:BYTE_0 src1_sel:DWORD
	s_waitcnt lgkmcnt(2)
	v_cmp_gt_f64_e32 vcc, v[0:1], v[2:3]
	s_waitcnt lgkmcnt(1)
	v_and_b32_e32 v12, 0xffffff00, v10
	v_or_b32_sdwa v10, v10, v12 dst_sel:DWORD dst_unused:UNUSED_PAD src0_sel:BYTE_0 src1_sel:DWORD
	v_cndmask_b32_e32 v1, v1, v3, vcc
	v_xor_b32_e32 v3, 8, v23
	v_cmp_lt_i32_e64 s[2:3], v3, v8
	v_cndmask_b32_e64 v3, v23, v3, s[2:3]
	v_lshlrev_b32_e32 v12, 2, v3
	ds_bpermute_b32 v3, v12, v1
	v_cndmask_b32_e32 v0, v0, v2, vcc
	ds_bpermute_b32 v2, v12, v0
	v_cndmask_b32_e32 v10, v11, v10, vcc
	ds_bpermute_b32 v11, v12, v10
	s_waitcnt lgkmcnt(2)
	v_and_b32_e32 v14, 0xffffff00, v3
	v_or_b32_sdwa v3, v3, v14 dst_sel:DWORD dst_unused:UNUSED_PAD src0_sel:BYTE_0 src1_sel:DWORD
	s_waitcnt lgkmcnt(1)
	v_cmp_gt_f64_e64 s[2:3], v[0:1], v[2:3]
	v_cndmask_b32_e32 v9, v9, v13, vcc
	s_waitcnt lgkmcnt(0)
	v_and_b32_e32 v13, 0xffffff00, v11
	ds_bpermute_b32 v12, v12, v9
	v_or_b32_sdwa v11, v11, v13 dst_sel:DWORD dst_unused:UNUSED_PAD src0_sel:BYTE_0 src1_sel:DWORD
	v_cndmask_b32_e64 v0, v0, v2, s[2:3]
	v_xor_b32_e32 v2, 16, v23
	v_cmp_lt_i32_e32 vcc, v2, v8
	v_cndmask_b32_e32 v2, v23, v2, vcc
	v_cndmask_b32_e64 v1, v1, v3, s[2:3]
	v_lshlrev_b32_e32 v3, 2, v2
	v_cndmask_b32_e64 v10, v10, v11, s[2:3]
	ds_bpermute_b32 v11, v3, v1
	ds_bpermute_b32 v2, v3, v0
	s_waitcnt lgkmcnt(2)
	v_cndmask_b32_e64 v9, v9, v12, s[2:3]
	ds_bpermute_b32 v12, v3, v10
	ds_bpermute_b32 v13, v3, v9
	s_waitcnt lgkmcnt(3)
	v_and_b32_e32 v3, 0xffffff00, v11
	v_or_b32_sdwa v3, v11, v3 dst_sel:DWORD dst_unused:UNUSED_PAD src0_sel:BYTE_0 src1_sel:DWORD
	s_waitcnt lgkmcnt(2)
	v_cmp_gt_f64_e32 vcc, v[0:1], v[2:3]
	s_waitcnt lgkmcnt(1)
	v_and_b32_e32 v11, 0xffffff00, v12
	v_or_b32_sdwa v11, v12, v11 dst_sel:DWORD dst_unused:UNUSED_PAD src0_sel:BYTE_0 src1_sel:DWORD
	v_cndmask_b32_e32 v1, v1, v3, vcc
	v_xor_b32_e32 v3, 32, v23
	v_cmp_lt_i32_e64 s[2:3], v3, v8
	v_cndmask_b32_e64 v3, v23, v3, s[2:3]
	v_lshlrev_b32_e32 v8, 2, v3
	ds_bpermute_b32 v3, v8, v1
	v_cndmask_b32_e32 v0, v0, v2, vcc
	ds_bpermute_b32 v2, v8, v0
	v_cndmask_b32_e32 v12, v10, v11, vcc
	ds_bpermute_b32 v10, v8, v12
	s_waitcnt lgkmcnt(2)
	v_and_b32_e32 v11, 0xffffff00, v3
	v_or_b32_sdwa v3, v3, v11 dst_sel:DWORD dst_unused:UNUSED_PAD src0_sel:BYTE_0 src1_sel:DWORD
	s_waitcnt lgkmcnt(1)
	v_cmp_gt_f64_e64 s[2:3], v[0:1], v[2:3]
	v_cndmask_b32_e32 v13, v9, v13, vcc
	ds_bpermute_b32 v8, v8, v13
	s_waitcnt lgkmcnt(1)
	v_and_b32_e32 v9, 0xffffff00, v10
	v_or_b32_sdwa v9, v10, v9 dst_sel:DWORD dst_unused:UNUSED_PAD src0_sel:BYTE_0 src1_sel:DWORD
	v_cndmask_b32_e64 v11, v1, v3, s[2:3]
	v_cndmask_b32_e64 v10, v0, v2, s[2:3]
	;; [unrolled: 1-line block ×3, first 2 shown]
	s_waitcnt lgkmcnt(0)
	v_cndmask_b32_e64 v8, v13, v8, s[2:3]
.LBB3_21:
	v_ashrrev_i32_e32 v25, 31, v24
	s_waitcnt lgkmcnt(3)
	v_lshrrev_b32_e32 v0, 26, v25
	v_add_u32_e32 v0, v24, v0
	v_ashrrev_i32_e32 v26, 6, v0
	v_and_b32_e32 v0, 0xffffffc0, v0
	v_sub_u32_e32 v12, v24, v0
	s_cmp_gt_i32 s4, 64
	s_cselect_b64 s[24:25], -1, 0
	s_cmpk_lt_i32 s4, 0x41
	v_ashrrev_i32_e32 v13, 31, v12
	s_cbranch_scc1 .LBB3_29
; %bb.22:
	v_cmp_eq_u32_e32 vcc, 0, v12
	s_and_saveexec_b64 s[2:3], vcc
; %bb.23:
	v_lshlrev_b32_e32 v0, 3, v26
	ds_write2_b64 v0, v[10:11], v[8:9] offset1:16
; %bb.24:
	s_or_b64 exec, exec, s[2:3]
	v_add_co_u32_e32 v0, vcc, 63, v24
	s_waitcnt lgkmcnt(2)
	v_addc_co_u32_e32 v1, vcc, 0, v25, vcc
	s_mov_b64 s[2:3], 0x7f
	v_cmp_gt_u64_e32 vcc, s[2:3], v[0:1]
	s_waitcnt lgkmcnt(0)
	s_barrier
	s_and_saveexec_b64 s[28:29], vcc
	s_cbranch_execz .LBB3_28
; %bb.25:
	v_lshlrev_b64 v[0:1], 6, v[12:13]
	v_mov_b32_e32 v2, s14
	v_cmp_gt_i64_e32 vcc, s[4:5], v[0:1]
	v_mov_b32_e32 v0, s12
	v_mov_b32_e32 v1, s13
	;; [unrolled: 1-line block ×3, first 2 shown]
	s_and_saveexec_b64 s[2:3], vcc
; %bb.26:
	v_lshlrev_b32_e32 v0, 3, v12
	ds_read2_b64 v[0:3], v0 offset1:16
; %bb.27:
	s_or_b64 exec, exec, s[2:3]
	v_and_b32_e32 v8, 64, v23
	v_add_u32_e32 v10, 64, v8
	v_xor_b32_e32 v8, 1, v23
	v_cmp_lt_i32_e32 vcc, v8, v10
	v_cndmask_b32_e32 v8, v23, v8, vcc
	v_lshlrev_b32_e32 v9, 2, v8
	s_waitcnt lgkmcnt(0)
	ds_bpermute_b32 v11, v9, v1
	ds_bpermute_b32 v8, v9, v0
	;; [unrolled: 1-line block ×4, first 2 shown]
	s_waitcnt lgkmcnt(3)
	v_and_b32_e32 v9, 0xffffff00, v11
	v_or_b32_sdwa v9, v11, v9 dst_sel:DWORD dst_unused:UNUSED_PAD src0_sel:BYTE_0 src1_sel:DWORD
	s_waitcnt lgkmcnt(2)
	v_cmp_gt_f64_e32 vcc, v[0:1], v[8:9]
	s_waitcnt lgkmcnt(1)
	v_and_b32_e32 v11, 0xffffff00, v14
	v_or_b32_sdwa v11, v14, v11 dst_sel:DWORD dst_unused:UNUSED_PAD src0_sel:BYTE_0 src1_sel:DWORD
	v_cndmask_b32_e32 v1, v1, v9, vcc
	v_xor_b32_e32 v9, 2, v23
	v_cmp_lt_i32_e64 s[2:3], v9, v10
	v_cndmask_b32_e64 v9, v23, v9, s[2:3]
	v_lshlrev_b32_e32 v14, 2, v9
	ds_bpermute_b32 v9, v14, v1
	v_cndmask_b32_e32 v0, v0, v8, vcc
	ds_bpermute_b32 v8, v14, v0
	v_cndmask_b32_e32 v3, v3, v11, vcc
	ds_bpermute_b32 v11, v14, v3
	s_waitcnt lgkmcnt(2)
	v_and_b32_e32 v16, 0xffffff00, v9
	v_or_b32_sdwa v9, v9, v16 dst_sel:DWORD dst_unused:UNUSED_PAD src0_sel:BYTE_0 src1_sel:DWORD
	s_waitcnt lgkmcnt(1)
	v_cmp_gt_f64_e64 s[2:3], v[0:1], v[8:9]
	v_cndmask_b32_e32 v2, v2, v15, vcc
	s_waitcnt lgkmcnt(0)
	v_and_b32_e32 v15, 0xffffff00, v11
	ds_bpermute_b32 v14, v14, v2
	v_cndmask_b32_e64 v1, v1, v9, s[2:3]
	v_or_b32_sdwa v9, v11, v15 dst_sel:DWORD dst_unused:UNUSED_PAD src0_sel:BYTE_0 src1_sel:DWORD
	v_cndmask_b32_e64 v0, v0, v8, s[2:3]
	v_cndmask_b32_e64 v8, v3, v9, s[2:3]
	v_xor_b32_e32 v3, 4, v23
	v_cmp_lt_i32_e32 vcc, v3, v10
	v_cndmask_b32_e32 v3, v23, v3, vcc
	v_lshlrev_b32_e32 v3, 2, v3
	ds_bpermute_b32 v9, v3, v1
	s_waitcnt lgkmcnt(1)
	v_cndmask_b32_e64 v11, v2, v14, s[2:3]
	ds_bpermute_b32 v2, v3, v0
	ds_bpermute_b32 v14, v3, v8
	;; [unrolled: 1-line block ×3, first 2 shown]
	s_waitcnt lgkmcnt(3)
	v_and_b32_e32 v3, 0xffffff00, v9
	v_or_b32_sdwa v3, v9, v3 dst_sel:DWORD dst_unused:UNUSED_PAD src0_sel:BYTE_0 src1_sel:DWORD
	s_waitcnt lgkmcnt(2)
	v_cmp_gt_f64_e32 vcc, v[0:1], v[2:3]
	s_waitcnt lgkmcnt(1)
	v_and_b32_e32 v9, 0xffffff00, v14
	v_or_b32_sdwa v9, v14, v9 dst_sel:DWORD dst_unused:UNUSED_PAD src0_sel:BYTE_0 src1_sel:DWORD
	v_cndmask_b32_e32 v1, v1, v3, vcc
	v_xor_b32_e32 v3, 8, v23
	v_cmp_lt_i32_e64 s[2:3], v3, v10
	v_cndmask_b32_e64 v3, v23, v3, s[2:3]
	v_lshlrev_b32_e32 v10, 2, v3
	ds_bpermute_b32 v3, v10, v1
	v_cndmask_b32_e32 v0, v0, v2, vcc
	ds_bpermute_b32 v2, v10, v0
	v_cndmask_b32_e32 v8, v8, v9, vcc
	ds_bpermute_b32 v9, v10, v8
	s_waitcnt lgkmcnt(2)
	v_and_b32_e32 v14, 0xffffff00, v3
	v_or_b32_sdwa v3, v3, v14 dst_sel:DWORD dst_unused:UNUSED_PAD src0_sel:BYTE_0 src1_sel:DWORD
	s_waitcnt lgkmcnt(1)
	v_cmp_gt_f64_e64 s[2:3], v[0:1], v[2:3]
	v_cndmask_b32_e32 v14, v11, v15, vcc
	ds_bpermute_b32 v15, v10, v14
	s_waitcnt lgkmcnt(1)
	v_and_b32_e32 v10, 0xffffff00, v9
	v_or_b32_sdwa v9, v9, v10 dst_sel:DWORD dst_unused:UNUSED_PAD src0_sel:BYTE_0 src1_sel:DWORD
	v_cndmask_b32_e64 v11, v1, v3, s[2:3]
	v_cndmask_b32_e64 v10, v0, v2, s[2:3]
	;; [unrolled: 1-line block ×3, first 2 shown]
	s_waitcnt lgkmcnt(0)
	v_cndmask_b32_e64 v8, v14, v15, s[2:3]
.LBB3_28:
	s_or_b64 exec, exec, s[28:29]
	s_barrier
.LBB3_29:
	s_mul_i32 s0, s26, s0
	s_mul_i32 s2, s27, s26
	s_add_i32 s0, s0, s6
	s_mul_i32 s3, s2, s8
	s_add_i32 s0, s0, s3
	s_mul_i32 s2, s1, s2
	s_ashr_i32 s1, s0, 31
	s_lshr_b32 s1, s1, 27
	s_add_i32 s6, s0, s1
	s_and_b32 s1, s6, 0xffffffe0
	s_sub_i32 s26, s0, s1
	s_ashr_i32 s0, s2, 31
	s_lshr_b32 s0, s0, 27
	s_add_i32 s0, s2, s0
	s_ashr_i32 s3, s0, 5
	s_andn2_b32 s0, s0, 31
	s_sub_i32 s0, s2, s0
	s_cmp_lt_i32 s26, s0
	s_cselect_b64 s[0:1], -1, 0
	s_cmp_lg_u64 s[0:1], 0
	s_addc_u32 s27, s3, 0
	s_cmp_gt_u32 s27, 1
	v_cmp_eq_u32_e64 s[0:1], 0, v24
	s_cbranch_scc0 .LBB3_62
; %bb.30:
	s_add_i32 s2, s2, 31
	s_ashr_i32 s3, s2, 31
	s_lshr_b32 s3, s3, 27
	s_add_i32 s2, s2, s3
	s_ashr_i32 s28, s2, 5
	s_mul_i32 s28, s28, s26
	s_and_saveexec_b64 s[2:3], s[0:1]
	s_cbranch_execz .LBB3_32
; %bb.31:
	s_ashr_i32 s7, s6, 5
	s_add_i32 s8, s28, s7
	s_ashr_i32 s9, s8, 31
	s_lshl_b32 s6, s26, 2
	s_lshl_b64 s[8:9], s[8:9], 3
	s_add_u32 s30, s18, s8
	s_addc_u32 s31, s19, s9
	s_add_u32 s8, s10, s8
	s_addc_u32 s9, s11, s9
	s_ashr_i32 s7, s6, 31
	s_lshl_b64 s[6:7], s[6:7], 2
	v_mov_b32_e32 v0, 0
	s_add_u32 s6, s16, s6
	global_store_dwordx2 v0, v[10:11], s[30:31]
	global_store_dwordx2 v0, v[8:9], s[8:9]
	s_addc_u32 s7, s17, s7
	s_add_i32 s8, s27, -1
	s_waitcnt lgkmcnt(2)
	v_mov_b32_e32 v1, s8
	s_waitcnt vmcnt(0) lgkmcnt(0)
	global_atomic_inc v1, v0, v1, s[6:7] glc
	s_waitcnt vmcnt(0)
	v_cmp_eq_u32_e32 vcc, s8, v1
	v_cndmask_b32_e64 v1, 0, 1, vcc
	ds_write_b8 v0, v1 offset:256
.LBB3_32:
	s_or_b64 exec, exec, s[2:3]
	v_mov_b32_e32 v0, 0
	s_waitcnt lgkmcnt(0)
	s_barrier
	ds_read_u8 v0, v0 offset:256
	v_mov_b32_e32 v2, v6
	s_mov_b64 s[2:3], 0
	v_mov_b32_e32 v3, v7
	s_waitcnt lgkmcnt(0)
	v_and_b32_e32 v0, 1, v0
	v_cmp_eq_u32_e32 vcc, 0, v0
	v_mov_b32_e32 v0, v4
	v_mov_b32_e32 v1, v5
	s_cbranch_vccnz .LBB3_61
; %bb.33:
	v_mov_b32_e32 v2, s12
	v_mov_b32_e32 v0, s14
	v_cmp_gt_u32_e32 vcc, s27, v24
	v_mov_b32_e32 v3, s13
	v_mov_b32_e32 v1, s15
	s_and_saveexec_b64 s[6:7], vcc
	s_cbranch_execz .LBB3_37
; %bb.34:
	v_mov_b32_e32 v2, s12
	v_mov_b32_e32 v0, s14
	s_mov_b64 s[8:9], 0
	v_mov_b32_e32 v3, s13
	v_mov_b32_e32 v1, s15
	;; [unrolled: 1-line block ×6, first 2 shown]
.LBB3_35:                               ; =>This Inner Loop Header: Depth=1
	v_add_u32_e32 v14, s28, v18
	v_lshlrev_b64 v[19:20], 3, v[14:15]
	v_add_u32_e32 v18, s4, v18
	v_add_co_u32_e32 v21, vcc, s18, v19
	v_addc_co_u32_e32 v22, vcc, v16, v20, vcc
	global_load_dwordx2 v[21:22], v[21:22], off glc
	v_add_co_u32_e32 v19, vcc, s10, v19
	v_addc_co_u32_e32 v20, vcc, v17, v20, vcc
	global_load_dwordx2 v[19:20], v[19:20], off glc
	v_cmp_le_u32_e64 s[2:3], s27, v18
	s_or_b64 s[8:9], s[2:3], s[8:9]
	s_waitcnt vmcnt(1)
	v_cmp_gt_f64_e32 vcc, v[2:3], v[21:22]
	v_cndmask_b32_e32 v3, v3, v22, vcc
	v_cndmask_b32_e32 v2, v2, v21, vcc
	s_waitcnt vmcnt(0)
	v_cndmask_b32_e32 v1, v1, v20, vcc
	v_cndmask_b32_e32 v0, v0, v19, vcc
	s_andn2_b64 exec, exec, s[8:9]
	s_cbranch_execnz .LBB3_35
; %bb.36:
	s_or_b64 exec, exec, s[8:9]
.LBB3_37:
	s_or_b64 exec, exec, s[6:7]
	s_andn2_b64 vcc, exec, s[20:21]
	s_cbranch_vccnz .LBB3_69
; %bb.38:
	v_and_b32_e32 v27, 64, v23
	v_xor_b32_e32 v14, 1, v24
	v_and_or_b32 v15, v14, 63, v27
	v_lshlrev_b32_e32 v15, 2, v15
	ds_bpermute_b32 v20, v15, v2
	ds_bpermute_b32 v30, v15, v3
	;; [unrolled: 1-line block ×4, first 2 shown]
	v_cmp_gt_i32_e32 vcc, s4, v14
	v_mov_b32_e32 v17, v3
	v_mov_b32_e32 v15, v1
	;; [unrolled: 1-line block ×8, first 2 shown]
	s_and_saveexec_b64 s[2:3], vcc
	s_cbranch_execz .LBB3_40
; %bb.39:
	s_waitcnt lgkmcnt(2)
	v_and_b32_e32 v14, 0xffffff00, v30
	v_or_b32_sdwa v21, v30, v14 dst_sel:DWORD dst_unused:UNUSED_PAD src0_sel:BYTE_0 src1_sel:DWORD
	v_cmp_gt_f64_e32 vcc, v[2:3], v[20:21]
	s_waitcnt lgkmcnt(0)
	v_and_b32_e32 v14, 0xffffff00, v29
	v_or_b32_sdwa v14, v29, v14 dst_sel:DWORD dst_unused:UNUSED_PAD src0_sel:BYTE_0 src1_sel:DWORD
	v_cndmask_b32_e32 v17, v3, v21, vcc
	v_cndmask_b32_e32 v21, v0, v28, vcc
	;; [unrolled: 1-line block ×4, first 2 shown]
	v_mov_b32_e32 v14, v21
	v_mov_b32_e32 v19, v17
	;; [unrolled: 1-line block ×4, first 2 shown]
.LBB3_40:
	s_or_b64 exec, exec, s[2:3]
	s_waitcnt lgkmcnt(2)
	v_xor_b32_e32 v30, 2, v24
	v_and_or_b32 v20, v30, 63, v27
	v_lshlrev_b32_e32 v31, 2, v20
	ds_bpermute_b32 v20, v31, v18
	s_waitcnt lgkmcnt(1)
	ds_bpermute_b32 v29, v31, v19
	ds_bpermute_b32 v28, v31, v21
	;; [unrolled: 1-line block ×3, first 2 shown]
	v_cmp_gt_i32_e32 vcc, s4, v30
	s_and_saveexec_b64 s[2:3], vcc
	s_cbranch_execz .LBB3_42
; %bb.41:
	s_waitcnt lgkmcnt(2)
	v_and_b32_e32 v18, 0xffffff00, v29
	v_or_b32_sdwa v21, v29, v18 dst_sel:DWORD dst_unused:UNUSED_PAD src0_sel:BYTE_0 src1_sel:DWORD
	v_cmp_gt_f64_e32 vcc, v[16:17], v[20:21]
	s_waitcnt lgkmcnt(0)
	v_and_b32_e32 v18, 0xffffff00, v22
	v_or_b32_sdwa v18, v22, v18 dst_sel:DWORD dst_unused:UNUSED_PAD src0_sel:BYTE_0 src1_sel:DWORD
	v_cndmask_b32_e32 v17, v17, v21, vcc
	v_cndmask_b32_e32 v16, v16, v20, vcc
	v_cndmask_b32_e32 v15, v15, v18, vcc
	v_cndmask_b32_e32 v14, v14, v28, vcc
	v_mov_b32_e32 v19, v17
	v_mov_b32_e32 v18, v16
.LBB3_42:
	s_or_b64 exec, exec, s[2:3]
	s_waitcnt lgkmcnt(2)
	v_xor_b32_e32 v29, 4, v24
	v_and_or_b32 v20, v29, 63, v27
	s_waitcnt lgkmcnt(1)
	v_lshlrev_b32_e32 v28, 2, v20
	ds_bpermute_b32 v20, v28, v18
	ds_bpermute_b32 v21, v28, v19
	s_waitcnt lgkmcnt(2)
	ds_bpermute_b32 v22, v28, v14
	ds_bpermute_b32 v28, v28, v15
	v_cmp_gt_i32_e32 vcc, s4, v29
	s_and_saveexec_b64 s[2:3], vcc
	s_cbranch_execz .LBB3_44
; %bb.43:
	s_waitcnt lgkmcnt(2)
	v_and_b32_e32 v18, 0xffffff00, v21
	v_or_b32_sdwa v21, v21, v18 dst_sel:DWORD dst_unused:UNUSED_PAD src0_sel:BYTE_0 src1_sel:DWORD
	v_cmp_gt_f64_e32 vcc, v[16:17], v[20:21]
	s_waitcnt lgkmcnt(0)
	v_and_b32_e32 v18, 0xffffff00, v28
	v_or_b32_sdwa v28, v28, v18 dst_sel:DWORD dst_unused:UNUSED_PAD src0_sel:BYTE_0 src1_sel:DWORD
	v_cndmask_b32_e32 v18, v16, v20, vcc
	v_cndmask_b32_e32 v19, v17, v21, vcc
	v_mov_b32_e32 v16, v18
	v_cndmask_b32_e32 v15, v15, v28, vcc
	v_cndmask_b32_e32 v14, v14, v22, vcc
	v_mov_b32_e32 v17, v19
.LBB3_44:
	s_or_b64 exec, exec, s[2:3]
	v_xor_b32_e32 v29, 8, v24
	s_waitcnt lgkmcnt(3)
	v_and_or_b32 v20, v29, 63, v27
	s_waitcnt lgkmcnt(0)
	v_lshlrev_b32_e32 v28, 2, v20
	ds_bpermute_b32 v20, v28, v18
	ds_bpermute_b32 v21, v28, v19
	;; [unrolled: 1-line block ×4, first 2 shown]
	v_cmp_gt_i32_e32 vcc, s4, v29
	s_and_saveexec_b64 s[2:3], vcc
	s_cbranch_execz .LBB3_46
; %bb.45:
	s_waitcnt lgkmcnt(2)
	v_and_b32_e32 v18, 0xffffff00, v21
	v_or_b32_sdwa v21, v21, v18 dst_sel:DWORD dst_unused:UNUSED_PAD src0_sel:BYTE_0 src1_sel:DWORD
	v_cmp_gt_f64_e32 vcc, v[16:17], v[20:21]
	s_waitcnt lgkmcnt(0)
	v_and_b32_e32 v18, 0xffffff00, v28
	v_or_b32_sdwa v28, v28, v18 dst_sel:DWORD dst_unused:UNUSED_PAD src0_sel:BYTE_0 src1_sel:DWORD
	v_cndmask_b32_e32 v18, v16, v20, vcc
	v_cndmask_b32_e32 v19, v17, v21, vcc
	v_mov_b32_e32 v16, v18
	v_cndmask_b32_e32 v15, v15, v28, vcc
	v_cndmask_b32_e32 v14, v14, v22, vcc
	v_mov_b32_e32 v17, v19
.LBB3_46:
	s_or_b64 exec, exec, s[2:3]
	v_xor_b32_e32 v29, 16, v24
	s_waitcnt lgkmcnt(3)
	v_and_or_b32 v20, v29, 63, v27
	s_waitcnt lgkmcnt(0)
	v_lshlrev_b32_e32 v28, 2, v20
	ds_bpermute_b32 v20, v28, v18
	ds_bpermute_b32 v21, v28, v19
	;; [unrolled: 1-line block ×4, first 2 shown]
	v_cmp_gt_i32_e32 vcc, s4, v29
	s_and_saveexec_b64 s[2:3], vcc
	s_cbranch_execz .LBB3_48
; %bb.47:
	s_waitcnt lgkmcnt(2)
	v_and_b32_e32 v18, 0xffffff00, v21
	v_or_b32_sdwa v21, v21, v18 dst_sel:DWORD dst_unused:UNUSED_PAD src0_sel:BYTE_0 src1_sel:DWORD
	v_cmp_gt_f64_e32 vcc, v[16:17], v[20:21]
	s_waitcnt lgkmcnt(0)
	v_and_b32_e32 v18, 0xffffff00, v28
	v_or_b32_sdwa v28, v28, v18 dst_sel:DWORD dst_unused:UNUSED_PAD src0_sel:BYTE_0 src1_sel:DWORD
	v_cndmask_b32_e32 v18, v16, v20, vcc
	v_cndmask_b32_e32 v19, v17, v21, vcc
	v_mov_b32_e32 v16, v18
	v_cndmask_b32_e32 v15, v15, v28, vcc
	v_cndmask_b32_e32 v14, v14, v22, vcc
	v_mov_b32_e32 v17, v19
.LBB3_48:
	s_or_b64 exec, exec, s[2:3]
	s_waitcnt lgkmcnt(1)
	v_xor_b32_e32 v22, 32, v24
	v_and_or_b32 v20, v22, 63, v27
	v_lshlrev_b32_e32 v21, 2, v20
	ds_bpermute_b32 v18, v21, v18
	ds_bpermute_b32 v19, v21, v19
	;; [unrolled: 1-line block ×4, first 2 shown]
	v_cmp_gt_i32_e32 vcc, s4, v22
	s_and_saveexec_b64 s[2:3], vcc
	s_cbranch_execz .LBB3_50
; %bb.49:
	s_waitcnt lgkmcnt(2)
	v_and_b32_e32 v22, 0xffffff00, v19
	v_or_b32_sdwa v19, v19, v22 dst_sel:DWORD dst_unused:UNUSED_PAD src0_sel:BYTE_0 src1_sel:DWORD
	v_cmp_gt_f64_e32 vcc, v[16:17], v[18:19]
	s_waitcnt lgkmcnt(0)
	v_and_b32_e32 v22, 0xffffff00, v21
	v_or_b32_sdwa v21, v21, v22 dst_sel:DWORD dst_unused:UNUSED_PAD src0_sel:BYTE_0 src1_sel:DWORD
	v_cndmask_b32_e32 v17, v17, v19, vcc
	v_cndmask_b32_e32 v16, v16, v18, vcc
	;; [unrolled: 1-line block ×4, first 2 shown]
.LBB3_50:
	s_or_b64 exec, exec, s[2:3]
	s_branch .LBB3_52
.LBB3_51:
	v_and_b32_e32 v14, 64, v23
	v_add_u32_e32 v16, 64, v14
	v_xor_b32_e32 v14, 1, v23
	v_cmp_lt_i32_e32 vcc, v14, v16
	v_cndmask_b32_e32 v14, v23, v14, vcc
	v_lshlrev_b32_e32 v15, 2, v14
	ds_bpermute_b32 v17, v15, v3
	ds_bpermute_b32 v14, v15, v2
	s_waitcnt lgkmcnt(5)
	ds_bpermute_b32 v18, v15, v1
	s_waitcnt lgkmcnt(5)
	;; [unrolled: 2-line block ×3, first 2 shown]
	v_and_b32_e32 v15, 0xffffff00, v17
	v_or_b32_sdwa v15, v17, v15 dst_sel:DWORD dst_unused:UNUSED_PAD src0_sel:BYTE_0 src1_sel:DWORD
	s_waitcnt lgkmcnt(2)
	v_cmp_gt_f64_e32 vcc, v[2:3], v[14:15]
	s_waitcnt lgkmcnt(1)
	v_and_b32_e32 v17, 0xffffff00, v18
	v_or_b32_sdwa v17, v18, v17 dst_sel:DWORD dst_unused:UNUSED_PAD src0_sel:BYTE_0 src1_sel:DWORD
	v_cndmask_b32_e32 v3, v3, v15, vcc
	v_xor_b32_e32 v15, 2, v23
	v_cmp_lt_i32_e64 s[2:3], v15, v16
	v_cndmask_b32_e64 v15, v23, v15, s[2:3]
	v_lshlrev_b32_e32 v18, 2, v15
	ds_bpermute_b32 v15, v18, v3
	v_cndmask_b32_e32 v2, v2, v14, vcc
	ds_bpermute_b32 v14, v18, v2
	v_cndmask_b32_e32 v17, v1, v17, vcc
	ds_bpermute_b32 v20, v18, v17
	s_waitcnt lgkmcnt(2)
	v_and_b32_e32 v1, 0xffffff00, v15
	v_or_b32_sdwa v15, v15, v1 dst_sel:DWORD dst_unused:UNUSED_PAD src0_sel:BYTE_0 src1_sel:DWORD
	s_waitcnt lgkmcnt(1)
	v_cmp_gt_f64_e64 s[2:3], v[2:3], v[14:15]
	v_cndmask_b32_e32 v19, v0, v19, vcc
	s_waitcnt lgkmcnt(0)
	v_and_b32_e32 v0, 0xffffff00, v20
	ds_bpermute_b32 v18, v18, v19
	v_cndmask_b32_e64 v1, v3, v15, s[2:3]
	v_or_b32_sdwa v3, v20, v0 dst_sel:DWORD dst_unused:UNUSED_PAD src0_sel:BYTE_0 src1_sel:DWORD
	v_cndmask_b32_e64 v0, v2, v14, s[2:3]
	v_xor_b32_e32 v2, 4, v23
	v_cmp_lt_i32_e32 vcc, v2, v16
	v_cndmask_b32_e32 v2, v23, v2, vcc
	v_cndmask_b32_e64 v14, v17, v3, s[2:3]
	v_lshlrev_b32_e32 v3, 2, v2
	ds_bpermute_b32 v15, v3, v1
	ds_bpermute_b32 v2, v3, v0
	s_waitcnt lgkmcnt(2)
	v_cndmask_b32_e64 v17, v19, v18, s[2:3]
	ds_bpermute_b32 v18, v3, v14
	ds_bpermute_b32 v19, v3, v17
	s_waitcnt lgkmcnt(3)
	v_and_b32_e32 v3, 0xffffff00, v15
	v_or_b32_sdwa v3, v15, v3 dst_sel:DWORD dst_unused:UNUSED_PAD src0_sel:BYTE_0 src1_sel:DWORD
	s_waitcnt lgkmcnt(2)
	v_cmp_gt_f64_e32 vcc, v[0:1], v[2:3]
	s_waitcnt lgkmcnt(1)
	v_and_b32_e32 v15, 0xffffff00, v18
	v_or_b32_sdwa v15, v18, v15 dst_sel:DWORD dst_unused:UNUSED_PAD src0_sel:BYTE_0 src1_sel:DWORD
	v_cndmask_b32_e32 v1, v1, v3, vcc
	v_xor_b32_e32 v3, 8, v23
	v_cmp_lt_i32_e64 s[2:3], v3, v16
	v_cndmask_b32_e64 v3, v23, v3, s[2:3]
	v_lshlrev_b32_e32 v18, 2, v3
	ds_bpermute_b32 v3, v18, v1
	v_cndmask_b32_e32 v0, v0, v2, vcc
	ds_bpermute_b32 v2, v18, v0
	v_cndmask_b32_e32 v14, v14, v15, vcc
	ds_bpermute_b32 v15, v18, v14
	s_waitcnt lgkmcnt(2)
	v_and_b32_e32 v20, 0xffffff00, v3
	v_or_b32_sdwa v3, v3, v20 dst_sel:DWORD dst_unused:UNUSED_PAD src0_sel:BYTE_0 src1_sel:DWORD
	s_waitcnt lgkmcnt(1)
	v_cmp_gt_f64_e64 s[2:3], v[0:1], v[2:3]
	v_cndmask_b32_e32 v17, v17, v19, vcc
	s_waitcnt lgkmcnt(0)
	v_and_b32_e32 v19, 0xffffff00, v15
	ds_bpermute_b32 v18, v18, v17
	v_or_b32_sdwa v15, v15, v19 dst_sel:DWORD dst_unused:UNUSED_PAD src0_sel:BYTE_0 src1_sel:DWORD
	v_cndmask_b32_e64 v0, v0, v2, s[2:3]
	v_xor_b32_e32 v2, 16, v23
	v_cmp_lt_i32_e32 vcc, v2, v16
	v_cndmask_b32_e32 v2, v23, v2, vcc
	v_cndmask_b32_e64 v1, v1, v3, s[2:3]
	v_lshlrev_b32_e32 v3, 2, v2
	v_cndmask_b32_e64 v14, v14, v15, s[2:3]
	ds_bpermute_b32 v15, v3, v1
	ds_bpermute_b32 v2, v3, v0
	s_waitcnt lgkmcnt(2)
	v_cndmask_b32_e64 v17, v17, v18, s[2:3]
	ds_bpermute_b32 v18, v3, v14
	ds_bpermute_b32 v19, v3, v17
	s_waitcnt lgkmcnt(3)
	v_and_b32_e32 v3, 0xffffff00, v15
	v_or_b32_sdwa v3, v15, v3 dst_sel:DWORD dst_unused:UNUSED_PAD src0_sel:BYTE_0 src1_sel:DWORD
	s_waitcnt lgkmcnt(2)
	v_cmp_gt_f64_e32 vcc, v[0:1], v[2:3]
	s_waitcnt lgkmcnt(1)
	v_and_b32_e32 v15, 0xffffff00, v18
	v_or_b32_sdwa v15, v18, v15 dst_sel:DWORD dst_unused:UNUSED_PAD src0_sel:BYTE_0 src1_sel:DWORD
	v_cndmask_b32_e32 v1, v1, v3, vcc
	v_xor_b32_e32 v3, 32, v23
	v_cmp_lt_i32_e64 s[2:3], v3, v16
	v_cndmask_b32_e64 v3, v23, v3, s[2:3]
	v_lshlrev_b32_e32 v16, 2, v3
	ds_bpermute_b32 v3, v16, v1
	v_cndmask_b32_e32 v0, v0, v2, vcc
	ds_bpermute_b32 v2, v16, v0
	v_cndmask_b32_e32 v14, v14, v15, vcc
	ds_bpermute_b32 v15, v16, v14
	s_waitcnt lgkmcnt(2)
	v_and_b32_e32 v18, 0xffffff00, v3
	v_or_b32_sdwa v3, v3, v18 dst_sel:DWORD dst_unused:UNUSED_PAD src0_sel:BYTE_0 src1_sel:DWORD
	s_waitcnt lgkmcnt(1)
	v_cmp_gt_f64_e64 s[2:3], v[0:1], v[2:3]
	v_cndmask_b32_e32 v18, v17, v19, vcc
	ds_bpermute_b32 v19, v16, v18
	s_waitcnt lgkmcnt(1)
	v_and_b32_e32 v16, 0xffffff00, v15
	v_or_b32_sdwa v15, v15, v16 dst_sel:DWORD dst_unused:UNUSED_PAD src0_sel:BYTE_0 src1_sel:DWORD
	v_cndmask_b32_e64 v17, v1, v3, s[2:3]
	v_cndmask_b32_e64 v16, v0, v2, s[2:3]
	;; [unrolled: 1-line block ×3, first 2 shown]
	s_waitcnt lgkmcnt(0)
	v_cndmask_b32_e64 v14, v18, v19, s[2:3]
.LBB3_52:
	s_andn2_b64 vcc, exec, s[24:25]
	s_cbranch_vccnz .LBB3_60
; %bb.53:
	v_cmp_eq_u32_e32 vcc, 0, v12
	s_and_saveexec_b64 s[2:3], vcc
; %bb.54:
	v_lshlrev_b32_e32 v0, 3, v26
	ds_write2_b64 v0, v[16:17], v[14:15] offset1:16
; %bb.55:
	s_or_b64 exec, exec, s[2:3]
	v_add_co_u32_e32 v0, vcc, 63, v24
	v_addc_co_u32_e32 v1, vcc, 0, v25, vcc
	s_mov_b64 s[2:3], 0x7f
	v_cmp_gt_u64_e32 vcc, s[2:3], v[0:1]
	s_waitcnt lgkmcnt(0)
	s_barrier
	s_and_saveexec_b64 s[6:7], vcc
	s_cbranch_execz .LBB3_59
; %bb.56:
	v_lshlrev_b64 v[0:1], 6, v[12:13]
	v_mov_b32_e32 v2, s14
	v_cmp_gt_i64_e32 vcc, s[4:5], v[0:1]
	v_mov_b32_e32 v0, s12
	v_mov_b32_e32 v1, s13
	;; [unrolled: 1-line block ×3, first 2 shown]
	s_and_saveexec_b64 s[2:3], vcc
; %bb.57:
	v_lshlrev_b32_e32 v0, 3, v12
	ds_read2_b64 v[0:3], v0 offset1:16
; %bb.58:
	s_or_b64 exec, exec, s[2:3]
	v_and_b32_e32 v12, 64, v23
	v_add_u32_e32 v14, 64, v12
	v_xor_b32_e32 v12, 1, v23
	v_cmp_lt_i32_e32 vcc, v12, v14
	v_cndmask_b32_e32 v12, v23, v12, vcc
	v_lshlrev_b32_e32 v13, 2, v12
	s_waitcnt lgkmcnt(0)
	ds_bpermute_b32 v15, v13, v1
	ds_bpermute_b32 v12, v13, v0
	;; [unrolled: 1-line block ×4, first 2 shown]
	s_waitcnt lgkmcnt(3)
	v_and_b32_e32 v13, 0xffffff00, v15
	v_or_b32_sdwa v13, v15, v13 dst_sel:DWORD dst_unused:UNUSED_PAD src0_sel:BYTE_0 src1_sel:DWORD
	s_waitcnt lgkmcnt(2)
	v_cmp_gt_f64_e32 vcc, v[0:1], v[12:13]
	s_waitcnt lgkmcnt(1)
	v_and_b32_e32 v15, 0xffffff00, v16
	v_or_b32_sdwa v15, v16, v15 dst_sel:DWORD dst_unused:UNUSED_PAD src0_sel:BYTE_0 src1_sel:DWORD
	v_cndmask_b32_e32 v1, v1, v13, vcc
	v_xor_b32_e32 v13, 2, v23
	v_cmp_lt_i32_e64 s[2:3], v13, v14
	v_cndmask_b32_e64 v13, v23, v13, s[2:3]
	v_lshlrev_b32_e32 v16, 2, v13
	ds_bpermute_b32 v13, v16, v1
	v_cndmask_b32_e32 v0, v0, v12, vcc
	ds_bpermute_b32 v12, v16, v0
	v_cndmask_b32_e32 v3, v3, v15, vcc
	ds_bpermute_b32 v15, v16, v3
	s_waitcnt lgkmcnt(2)
	v_and_b32_e32 v18, 0xffffff00, v13
	v_or_b32_sdwa v13, v13, v18 dst_sel:DWORD dst_unused:UNUSED_PAD src0_sel:BYTE_0 src1_sel:DWORD
	s_waitcnt lgkmcnt(1)
	v_cmp_gt_f64_e64 s[2:3], v[0:1], v[12:13]
	v_cndmask_b32_e32 v2, v2, v17, vcc
	s_waitcnt lgkmcnt(0)
	v_and_b32_e32 v17, 0xffffff00, v15
	ds_bpermute_b32 v16, v16, v2
	v_cndmask_b32_e64 v1, v1, v13, s[2:3]
	v_or_b32_sdwa v13, v15, v17 dst_sel:DWORD dst_unused:UNUSED_PAD src0_sel:BYTE_0 src1_sel:DWORD
	v_cndmask_b32_e64 v0, v0, v12, s[2:3]
	v_cndmask_b32_e64 v12, v3, v13, s[2:3]
	v_xor_b32_e32 v3, 4, v23
	v_cmp_lt_i32_e32 vcc, v3, v14
	v_cndmask_b32_e32 v3, v23, v3, vcc
	v_lshlrev_b32_e32 v3, 2, v3
	ds_bpermute_b32 v13, v3, v1
	s_waitcnt lgkmcnt(1)
	v_cndmask_b32_e64 v15, v2, v16, s[2:3]
	ds_bpermute_b32 v2, v3, v0
	ds_bpermute_b32 v16, v3, v12
	;; [unrolled: 1-line block ×3, first 2 shown]
	s_waitcnt lgkmcnt(3)
	v_and_b32_e32 v3, 0xffffff00, v13
	v_or_b32_sdwa v3, v13, v3 dst_sel:DWORD dst_unused:UNUSED_PAD src0_sel:BYTE_0 src1_sel:DWORD
	s_waitcnt lgkmcnt(2)
	v_cmp_gt_f64_e32 vcc, v[0:1], v[2:3]
	s_waitcnt lgkmcnt(1)
	v_and_b32_e32 v13, 0xffffff00, v16
	v_or_b32_sdwa v13, v16, v13 dst_sel:DWORD dst_unused:UNUSED_PAD src0_sel:BYTE_0 src1_sel:DWORD
	v_cndmask_b32_e32 v1, v1, v3, vcc
	v_xor_b32_e32 v3, 8, v23
	v_cmp_lt_i32_e64 s[2:3], v3, v14
	v_cndmask_b32_e64 v3, v23, v3, s[2:3]
	v_lshlrev_b32_e32 v14, 2, v3
	ds_bpermute_b32 v3, v14, v1
	v_cndmask_b32_e32 v0, v0, v2, vcc
	ds_bpermute_b32 v2, v14, v0
	v_cndmask_b32_e32 v12, v12, v13, vcc
	ds_bpermute_b32 v13, v14, v12
	s_waitcnt lgkmcnt(2)
	v_and_b32_e32 v16, 0xffffff00, v3
	v_or_b32_sdwa v3, v3, v16 dst_sel:DWORD dst_unused:UNUSED_PAD src0_sel:BYTE_0 src1_sel:DWORD
	s_waitcnt lgkmcnt(1)
	v_cmp_gt_f64_e64 s[2:3], v[0:1], v[2:3]
	v_cndmask_b32_e32 v18, v15, v17, vcc
	ds_bpermute_b32 v14, v14, v18
	s_waitcnt lgkmcnt(1)
	v_and_b32_e32 v15, 0xffffff00, v13
	v_or_b32_sdwa v13, v13, v15 dst_sel:DWORD dst_unused:UNUSED_PAD src0_sel:BYTE_0 src1_sel:DWORD
	v_cndmask_b32_e64 v17, v1, v3, s[2:3]
	v_cndmask_b32_e64 v16, v0, v2, s[2:3]
	;; [unrolled: 1-line block ×3, first 2 shown]
	s_waitcnt lgkmcnt(0)
	v_cndmask_b32_e64 v14, v18, v14, s[2:3]
.LBB3_59:
	s_or_b64 exec, exec, s[6:7]
	s_barrier
.LBB3_60:
	v_mov_b32_e32 v0, 0
	ds_read_u8 v12, v0 offset:256
	v_cndmask_b32_e64 v1, v5, v17, s[0:1]
	v_cndmask_b32_e64 v0, v4, v16, s[0:1]
	;; [unrolled: 1-line block ×4, first 2 shown]
	s_waitcnt lgkmcnt(0)
	v_and_b32_e32 v12, 1, v12
	v_cmp_eq_u32_e64 s[2:3], 1, v12
.LBB3_61:
	v_mov_b32_e32 v12, s26
	s_and_b64 vcc, s[0:1], s[2:3]
	v_cndmask_b32_e32 v12, 32, v12, vcc
	s_branch .LBB3_66
.LBB3_62:
                                        ; implicit-def: $vgpr12
                                        ; implicit-def: $vgpr2_vgpr3
	s_cbranch_execz .LBB3_66
; %bb.63:
	v_mov_b32_e32 v12, 32
	s_and_saveexec_b64 s[2:3], s[0:1]
; %bb.64:
	v_mov_b32_e32 v6, v8
	v_mov_b32_e32 v4, v10
	;; [unrolled: 1-line block ×5, first 2 shown]
; %bb.65:
	s_or_b64 exec, exec, s[2:3]
	s_waitcnt lgkmcnt(2)
	v_mov_b32_e32 v0, v4
	s_waitcnt lgkmcnt(0)
	v_mov_b32_e32 v2, v6
	v_mov_b32_e32 v1, v5
	;; [unrolled: 1-line block ×3, first 2 shown]
.LBB3_66:
	v_cmp_ne_u32_e32 vcc, 32, v12
	s_and_saveexec_b64 s[0:1], vcc
	s_cbranch_execz .LBB3_5
; %bb.67:
	v_ashrrev_i32_e32 v13, 31, v12
	v_lshlrev_b64 v[4:5], 4, v[12:13]
	v_mov_b32_e32 v6, s23
	v_add_co_u32_e32 v4, vcc, s22, v4
	v_addc_co_u32_e32 v5, vcc, v6, v5, vcc
	s_waitcnt lgkmcnt(0)
	flat_store_dwordx4 v[4:5], v[0:3]
	s_endpgm
.LBB3_68:
                                        ; implicit-def: $vgpr10_vgpr11
                                        ; implicit-def: $vgpr8_vgpr9
	s_cbranch_execnz .LBB3_20
	s_branch .LBB3_21
.LBB3_69:
                                        ; implicit-def: $vgpr16_vgpr17
                                        ; implicit-def: $vgpr14_vgpr15
	s_cbranch_execnz .LBB3_51
	s_branch .LBB3_52
	.section	.rodata,"a",@progbits
	.p2align	6, 0x0
	.amdhsa_kernel _ZN4RAJA6policy3hip4impl18forallp_hip_kernelINS1_8hip_execINS_17iteration_mapping11StridedLoopILm0EEENS_3hip11IndexGlobalILNS_9named_dimE0ELi256ELi0EEENS8_40AvoidDeviceMaxThreadOccupancyConcretizerINS8_34FractionOffsetOccupancyConcretizerINS_8FractionImLm1ELm1EEELln1EEEEELb1EEENS_9Iterators16numeric_iteratorIllPlEEZN8rajaperf5lcals9FIRST_MIN17runHipVariantRAJAILm256ENSN_11gpu_mapping40global_loop_occupancy_grid_stride_helperEEEvNSN_9VariantIDEEUllE_lNS_4expt15ForallParamPackIJEEES7_SB_TnNSt9enable_ifIXaaaasr3std10is_base_ofINS5_15StridedLoopBaseET4_EE5valuesr3std10is_base_ofINS5_15UnsizedLoopBaseES10_EE5valuegtsrT5_10block_sizeLi0EEmE4typeELm256EEEvT1_T0_T2_T3_
		.amdhsa_group_segment_fixed_size 257
		.amdhsa_private_segment_fixed_size 0
		.amdhsa_kernarg_size 368
		.amdhsa_user_sgpr_count 6
		.amdhsa_user_sgpr_private_segment_buffer 1
		.amdhsa_user_sgpr_dispatch_ptr 0
		.amdhsa_user_sgpr_queue_ptr 0
		.amdhsa_user_sgpr_kernarg_segment_ptr 1
		.amdhsa_user_sgpr_dispatch_id 0
		.amdhsa_user_sgpr_flat_scratch_init 0
		.amdhsa_user_sgpr_private_segment_size 0
		.amdhsa_uses_dynamic_stack 0
		.amdhsa_system_sgpr_private_segment_wavefront_offset 0
		.amdhsa_system_sgpr_workgroup_id_x 1
		.amdhsa_system_sgpr_workgroup_id_y 1
		.amdhsa_system_sgpr_workgroup_id_z 1
		.amdhsa_system_sgpr_workgroup_info 0
		.amdhsa_system_vgpr_workitem_id 2
		.amdhsa_next_free_vgpr 32
		.amdhsa_next_free_sgpr 32
		.amdhsa_reserve_vcc 1
		.amdhsa_reserve_flat_scratch 0
		.amdhsa_float_round_mode_32 0
		.amdhsa_float_round_mode_16_64 0
		.amdhsa_float_denorm_mode_32 3
		.amdhsa_float_denorm_mode_16_64 3
		.amdhsa_dx10_clamp 1
		.amdhsa_ieee_mode 1
		.amdhsa_fp16_overflow 0
		.amdhsa_exception_fp_ieee_invalid_op 0
		.amdhsa_exception_fp_denorm_src 0
		.amdhsa_exception_fp_ieee_div_zero 0
		.amdhsa_exception_fp_ieee_overflow 0
		.amdhsa_exception_fp_ieee_underflow 0
		.amdhsa_exception_fp_ieee_inexact 0
		.amdhsa_exception_int_div_zero 0
	.end_amdhsa_kernel
	.section	.text._ZN4RAJA6policy3hip4impl18forallp_hip_kernelINS1_8hip_execINS_17iteration_mapping11StridedLoopILm0EEENS_3hip11IndexGlobalILNS_9named_dimE0ELi256ELi0EEENS8_40AvoidDeviceMaxThreadOccupancyConcretizerINS8_34FractionOffsetOccupancyConcretizerINS_8FractionImLm1ELm1EEELln1EEEEELb1EEENS_9Iterators16numeric_iteratorIllPlEEZN8rajaperf5lcals9FIRST_MIN17runHipVariantRAJAILm256ENSN_11gpu_mapping40global_loop_occupancy_grid_stride_helperEEEvNSN_9VariantIDEEUllE_lNS_4expt15ForallParamPackIJEEES7_SB_TnNSt9enable_ifIXaaaasr3std10is_base_ofINS5_15StridedLoopBaseET4_EE5valuesr3std10is_base_ofINS5_15UnsizedLoopBaseES10_EE5valuegtsrT5_10block_sizeLi0EEmE4typeELm256EEEvT1_T0_T2_T3_,"axG",@progbits,_ZN4RAJA6policy3hip4impl18forallp_hip_kernelINS1_8hip_execINS_17iteration_mapping11StridedLoopILm0EEENS_3hip11IndexGlobalILNS_9named_dimE0ELi256ELi0EEENS8_40AvoidDeviceMaxThreadOccupancyConcretizerINS8_34FractionOffsetOccupancyConcretizerINS_8FractionImLm1ELm1EEELln1EEEEELb1EEENS_9Iterators16numeric_iteratorIllPlEEZN8rajaperf5lcals9FIRST_MIN17runHipVariantRAJAILm256ENSN_11gpu_mapping40global_loop_occupancy_grid_stride_helperEEEvNSN_9VariantIDEEUllE_lNS_4expt15ForallParamPackIJEEES7_SB_TnNSt9enable_ifIXaaaasr3std10is_base_ofINS5_15StridedLoopBaseET4_EE5valuesr3std10is_base_ofINS5_15UnsizedLoopBaseES10_EE5valuegtsrT5_10block_sizeLi0EEmE4typeELm256EEEvT1_T0_T2_T3_,comdat
.Lfunc_end3:
	.size	_ZN4RAJA6policy3hip4impl18forallp_hip_kernelINS1_8hip_execINS_17iteration_mapping11StridedLoopILm0EEENS_3hip11IndexGlobalILNS_9named_dimE0ELi256ELi0EEENS8_40AvoidDeviceMaxThreadOccupancyConcretizerINS8_34FractionOffsetOccupancyConcretizerINS_8FractionImLm1ELm1EEELln1EEEEELb1EEENS_9Iterators16numeric_iteratorIllPlEEZN8rajaperf5lcals9FIRST_MIN17runHipVariantRAJAILm256ENSN_11gpu_mapping40global_loop_occupancy_grid_stride_helperEEEvNSN_9VariantIDEEUllE_lNS_4expt15ForallParamPackIJEEES7_SB_TnNSt9enable_ifIXaaaasr3std10is_base_ofINS5_15StridedLoopBaseET4_EE5valuesr3std10is_base_ofINS5_15UnsizedLoopBaseES10_EE5valuegtsrT5_10block_sizeLi0EEmE4typeELm256EEEvT1_T0_T2_T3_, .Lfunc_end3-_ZN4RAJA6policy3hip4impl18forallp_hip_kernelINS1_8hip_execINS_17iteration_mapping11StridedLoopILm0EEENS_3hip11IndexGlobalILNS_9named_dimE0ELi256ELi0EEENS8_40AvoidDeviceMaxThreadOccupancyConcretizerINS8_34FractionOffsetOccupancyConcretizerINS_8FractionImLm1ELm1EEELln1EEEEELb1EEENS_9Iterators16numeric_iteratorIllPlEEZN8rajaperf5lcals9FIRST_MIN17runHipVariantRAJAILm256ENSN_11gpu_mapping40global_loop_occupancy_grid_stride_helperEEEvNSN_9VariantIDEEUllE_lNS_4expt15ForallParamPackIJEEES7_SB_TnNSt9enable_ifIXaaaasr3std10is_base_ofINS5_15StridedLoopBaseET4_EE5valuesr3std10is_base_ofINS5_15UnsizedLoopBaseES10_EE5valuegtsrT5_10block_sizeLi0EEmE4typeELm256EEEvT1_T0_T2_T3_
                                        ; -- End function
	.set _ZN4RAJA6policy3hip4impl18forallp_hip_kernelINS1_8hip_execINS_17iteration_mapping11StridedLoopILm0EEENS_3hip11IndexGlobalILNS_9named_dimE0ELi256ELi0EEENS8_40AvoidDeviceMaxThreadOccupancyConcretizerINS8_34FractionOffsetOccupancyConcretizerINS_8FractionImLm1ELm1EEELln1EEEEELb1EEENS_9Iterators16numeric_iteratorIllPlEEZN8rajaperf5lcals9FIRST_MIN17runHipVariantRAJAILm256ENSN_11gpu_mapping40global_loop_occupancy_grid_stride_helperEEEvNSN_9VariantIDEEUllE_lNS_4expt15ForallParamPackIJEEES7_SB_TnNSt9enable_ifIXaaaasr3std10is_base_ofINS5_15StridedLoopBaseET4_EE5valuesr3std10is_base_ofINS5_15UnsizedLoopBaseES10_EE5valuegtsrT5_10block_sizeLi0EEmE4typeELm256EEEvT1_T0_T2_T3_.num_vgpr, 32
	.set _ZN4RAJA6policy3hip4impl18forallp_hip_kernelINS1_8hip_execINS_17iteration_mapping11StridedLoopILm0EEENS_3hip11IndexGlobalILNS_9named_dimE0ELi256ELi0EEENS8_40AvoidDeviceMaxThreadOccupancyConcretizerINS8_34FractionOffsetOccupancyConcretizerINS_8FractionImLm1ELm1EEELln1EEEEELb1EEENS_9Iterators16numeric_iteratorIllPlEEZN8rajaperf5lcals9FIRST_MIN17runHipVariantRAJAILm256ENSN_11gpu_mapping40global_loop_occupancy_grid_stride_helperEEEvNSN_9VariantIDEEUllE_lNS_4expt15ForallParamPackIJEEES7_SB_TnNSt9enable_ifIXaaaasr3std10is_base_ofINS5_15StridedLoopBaseET4_EE5valuesr3std10is_base_ofINS5_15UnsizedLoopBaseES10_EE5valuegtsrT5_10block_sizeLi0EEmE4typeELm256EEEvT1_T0_T2_T3_.num_agpr, 0
	.set _ZN4RAJA6policy3hip4impl18forallp_hip_kernelINS1_8hip_execINS_17iteration_mapping11StridedLoopILm0EEENS_3hip11IndexGlobalILNS_9named_dimE0ELi256ELi0EEENS8_40AvoidDeviceMaxThreadOccupancyConcretizerINS8_34FractionOffsetOccupancyConcretizerINS_8FractionImLm1ELm1EEELln1EEEEELb1EEENS_9Iterators16numeric_iteratorIllPlEEZN8rajaperf5lcals9FIRST_MIN17runHipVariantRAJAILm256ENSN_11gpu_mapping40global_loop_occupancy_grid_stride_helperEEEvNSN_9VariantIDEEUllE_lNS_4expt15ForallParamPackIJEEES7_SB_TnNSt9enable_ifIXaaaasr3std10is_base_ofINS5_15StridedLoopBaseET4_EE5valuesr3std10is_base_ofINS5_15UnsizedLoopBaseES10_EE5valuegtsrT5_10block_sizeLi0EEmE4typeELm256EEEvT1_T0_T2_T3_.numbered_sgpr, 32
	.set _ZN4RAJA6policy3hip4impl18forallp_hip_kernelINS1_8hip_execINS_17iteration_mapping11StridedLoopILm0EEENS_3hip11IndexGlobalILNS_9named_dimE0ELi256ELi0EEENS8_40AvoidDeviceMaxThreadOccupancyConcretizerINS8_34FractionOffsetOccupancyConcretizerINS_8FractionImLm1ELm1EEELln1EEEEELb1EEENS_9Iterators16numeric_iteratorIllPlEEZN8rajaperf5lcals9FIRST_MIN17runHipVariantRAJAILm256ENSN_11gpu_mapping40global_loop_occupancy_grid_stride_helperEEEvNSN_9VariantIDEEUllE_lNS_4expt15ForallParamPackIJEEES7_SB_TnNSt9enable_ifIXaaaasr3std10is_base_ofINS5_15StridedLoopBaseET4_EE5valuesr3std10is_base_ofINS5_15UnsizedLoopBaseES10_EE5valuegtsrT5_10block_sizeLi0EEmE4typeELm256EEEvT1_T0_T2_T3_.num_named_barrier, 0
	.set _ZN4RAJA6policy3hip4impl18forallp_hip_kernelINS1_8hip_execINS_17iteration_mapping11StridedLoopILm0EEENS_3hip11IndexGlobalILNS_9named_dimE0ELi256ELi0EEENS8_40AvoidDeviceMaxThreadOccupancyConcretizerINS8_34FractionOffsetOccupancyConcretizerINS_8FractionImLm1ELm1EEELln1EEEEELb1EEENS_9Iterators16numeric_iteratorIllPlEEZN8rajaperf5lcals9FIRST_MIN17runHipVariantRAJAILm256ENSN_11gpu_mapping40global_loop_occupancy_grid_stride_helperEEEvNSN_9VariantIDEEUllE_lNS_4expt15ForallParamPackIJEEES7_SB_TnNSt9enable_ifIXaaaasr3std10is_base_ofINS5_15StridedLoopBaseET4_EE5valuesr3std10is_base_ofINS5_15UnsizedLoopBaseES10_EE5valuegtsrT5_10block_sizeLi0EEmE4typeELm256EEEvT1_T0_T2_T3_.private_seg_size, 0
	.set _ZN4RAJA6policy3hip4impl18forallp_hip_kernelINS1_8hip_execINS_17iteration_mapping11StridedLoopILm0EEENS_3hip11IndexGlobalILNS_9named_dimE0ELi256ELi0EEENS8_40AvoidDeviceMaxThreadOccupancyConcretizerINS8_34FractionOffsetOccupancyConcretizerINS_8FractionImLm1ELm1EEELln1EEEEELb1EEENS_9Iterators16numeric_iteratorIllPlEEZN8rajaperf5lcals9FIRST_MIN17runHipVariantRAJAILm256ENSN_11gpu_mapping40global_loop_occupancy_grid_stride_helperEEEvNSN_9VariantIDEEUllE_lNS_4expt15ForallParamPackIJEEES7_SB_TnNSt9enable_ifIXaaaasr3std10is_base_ofINS5_15StridedLoopBaseET4_EE5valuesr3std10is_base_ofINS5_15UnsizedLoopBaseES10_EE5valuegtsrT5_10block_sizeLi0EEmE4typeELm256EEEvT1_T0_T2_T3_.uses_vcc, 1
	.set _ZN4RAJA6policy3hip4impl18forallp_hip_kernelINS1_8hip_execINS_17iteration_mapping11StridedLoopILm0EEENS_3hip11IndexGlobalILNS_9named_dimE0ELi256ELi0EEENS8_40AvoidDeviceMaxThreadOccupancyConcretizerINS8_34FractionOffsetOccupancyConcretizerINS_8FractionImLm1ELm1EEELln1EEEEELb1EEENS_9Iterators16numeric_iteratorIllPlEEZN8rajaperf5lcals9FIRST_MIN17runHipVariantRAJAILm256ENSN_11gpu_mapping40global_loop_occupancy_grid_stride_helperEEEvNSN_9VariantIDEEUllE_lNS_4expt15ForallParamPackIJEEES7_SB_TnNSt9enable_ifIXaaaasr3std10is_base_ofINS5_15StridedLoopBaseET4_EE5valuesr3std10is_base_ofINS5_15UnsizedLoopBaseES10_EE5valuegtsrT5_10block_sizeLi0EEmE4typeELm256EEEvT1_T0_T2_T3_.uses_flat_scratch, 0
	.set _ZN4RAJA6policy3hip4impl18forallp_hip_kernelINS1_8hip_execINS_17iteration_mapping11StridedLoopILm0EEENS_3hip11IndexGlobalILNS_9named_dimE0ELi256ELi0EEENS8_40AvoidDeviceMaxThreadOccupancyConcretizerINS8_34FractionOffsetOccupancyConcretizerINS_8FractionImLm1ELm1EEELln1EEEEELb1EEENS_9Iterators16numeric_iteratorIllPlEEZN8rajaperf5lcals9FIRST_MIN17runHipVariantRAJAILm256ENSN_11gpu_mapping40global_loop_occupancy_grid_stride_helperEEEvNSN_9VariantIDEEUllE_lNS_4expt15ForallParamPackIJEEES7_SB_TnNSt9enable_ifIXaaaasr3std10is_base_ofINS5_15StridedLoopBaseET4_EE5valuesr3std10is_base_ofINS5_15UnsizedLoopBaseES10_EE5valuegtsrT5_10block_sizeLi0EEmE4typeELm256EEEvT1_T0_T2_T3_.has_dyn_sized_stack, 0
	.set _ZN4RAJA6policy3hip4impl18forallp_hip_kernelINS1_8hip_execINS_17iteration_mapping11StridedLoopILm0EEENS_3hip11IndexGlobalILNS_9named_dimE0ELi256ELi0EEENS8_40AvoidDeviceMaxThreadOccupancyConcretizerINS8_34FractionOffsetOccupancyConcretizerINS_8FractionImLm1ELm1EEELln1EEEEELb1EEENS_9Iterators16numeric_iteratorIllPlEEZN8rajaperf5lcals9FIRST_MIN17runHipVariantRAJAILm256ENSN_11gpu_mapping40global_loop_occupancy_grid_stride_helperEEEvNSN_9VariantIDEEUllE_lNS_4expt15ForallParamPackIJEEES7_SB_TnNSt9enable_ifIXaaaasr3std10is_base_ofINS5_15StridedLoopBaseET4_EE5valuesr3std10is_base_ofINS5_15UnsizedLoopBaseES10_EE5valuegtsrT5_10block_sizeLi0EEmE4typeELm256EEEvT1_T0_T2_T3_.has_recursion, 0
	.set _ZN4RAJA6policy3hip4impl18forallp_hip_kernelINS1_8hip_execINS_17iteration_mapping11StridedLoopILm0EEENS_3hip11IndexGlobalILNS_9named_dimE0ELi256ELi0EEENS8_40AvoidDeviceMaxThreadOccupancyConcretizerINS8_34FractionOffsetOccupancyConcretizerINS_8FractionImLm1ELm1EEELln1EEEEELb1EEENS_9Iterators16numeric_iteratorIllPlEEZN8rajaperf5lcals9FIRST_MIN17runHipVariantRAJAILm256ENSN_11gpu_mapping40global_loop_occupancy_grid_stride_helperEEEvNSN_9VariantIDEEUllE_lNS_4expt15ForallParamPackIJEEES7_SB_TnNSt9enable_ifIXaaaasr3std10is_base_ofINS5_15StridedLoopBaseET4_EE5valuesr3std10is_base_ofINS5_15UnsizedLoopBaseES10_EE5valuegtsrT5_10block_sizeLi0EEmE4typeELm256EEEvT1_T0_T2_T3_.has_indirect_call, 0
	.section	.AMDGPU.csdata,"",@progbits
; Kernel info:
; codeLenInByte = 5788
; TotalNumSgprs: 36
; NumVgprs: 32
; ScratchSize: 0
; MemoryBound: 0
; FloatMode: 240
; IeeeMode: 1
; LDSByteSize: 257 bytes/workgroup (compile time only)
; SGPRBlocks: 4
; VGPRBlocks: 7
; NumSGPRsForWavesPerEU: 36
; NumVGPRsForWavesPerEU: 32
; Occupancy: 8
; WaveLimiterHint : 1
; COMPUTE_PGM_RSRC2:SCRATCH_EN: 0
; COMPUTE_PGM_RSRC2:USER_SGPR: 6
; COMPUTE_PGM_RSRC2:TRAP_HANDLER: 0
; COMPUTE_PGM_RSRC2:TGID_X_EN: 1
; COMPUTE_PGM_RSRC2:TGID_Y_EN: 1
; COMPUTE_PGM_RSRC2:TGID_Z_EN: 1
; COMPUTE_PGM_RSRC2:TIDIG_COMP_CNT: 2
	.section	.text._ZN4RAJA6policy3hip4impl18forallp_hip_kernelINS1_8hip_execINS_17iteration_mapping11StridedLoopILm0EEENS_3hip11IndexGlobalILNS_9named_dimE0ELi256ELi0EEENS8_40AvoidDeviceMaxThreadOccupancyConcretizerINS8_34FractionOffsetOccupancyConcretizerINS_8FractionImLm1ELm1EEELln1EEEEELb1EEENS_9Iterators16numeric_iteratorIllPlEEZN8rajaperf5lcals9FIRST_MIN26runHipVariantRAJANewReduceILm256ENSN_11gpu_mapping40global_loop_occupancy_grid_stride_helperEEEvNSN_9VariantIDEEUllRNS_4expt5ValOpINSU_6ValLocIdlEENS_9operators7minimumEEEE_lNSU_15ForallParamPackIJNSU_6detail7ReducerINSZ_ISX_SX_SX_EESX_S10_EEEEES7_SB_TnNSt9enable_ifIXaaaasr3std10is_base_ofINS5_15StridedLoopBaseET4_EE5valuesr3std10is_base_ofINS5_15UnsizedLoopBaseES1B_EE5valuegtsrT5_10block_sizeLi0EEmE4typeELm256EEEvT1_T0_T2_T3_,"axG",@progbits,_ZN4RAJA6policy3hip4impl18forallp_hip_kernelINS1_8hip_execINS_17iteration_mapping11StridedLoopILm0EEENS_3hip11IndexGlobalILNS_9named_dimE0ELi256ELi0EEENS8_40AvoidDeviceMaxThreadOccupancyConcretizerINS8_34FractionOffsetOccupancyConcretizerINS_8FractionImLm1ELm1EEELln1EEEEELb1EEENS_9Iterators16numeric_iteratorIllPlEEZN8rajaperf5lcals9FIRST_MIN26runHipVariantRAJANewReduceILm256ENSN_11gpu_mapping40global_loop_occupancy_grid_stride_helperEEEvNSN_9VariantIDEEUllRNS_4expt5ValOpINSU_6ValLocIdlEENS_9operators7minimumEEEE_lNSU_15ForallParamPackIJNSU_6detail7ReducerINSZ_ISX_SX_SX_EESX_S10_EEEEES7_SB_TnNSt9enable_ifIXaaaasr3std10is_base_ofINS5_15StridedLoopBaseET4_EE5valuesr3std10is_base_ofINS5_15UnsizedLoopBaseES1B_EE5valuegtsrT5_10block_sizeLi0EEmE4typeELm256EEEvT1_T0_T2_T3_,comdat
	.protected	_ZN4RAJA6policy3hip4impl18forallp_hip_kernelINS1_8hip_execINS_17iteration_mapping11StridedLoopILm0EEENS_3hip11IndexGlobalILNS_9named_dimE0ELi256ELi0EEENS8_40AvoidDeviceMaxThreadOccupancyConcretizerINS8_34FractionOffsetOccupancyConcretizerINS_8FractionImLm1ELm1EEELln1EEEEELb1EEENS_9Iterators16numeric_iteratorIllPlEEZN8rajaperf5lcals9FIRST_MIN26runHipVariantRAJANewReduceILm256ENSN_11gpu_mapping40global_loop_occupancy_grid_stride_helperEEEvNSN_9VariantIDEEUllRNS_4expt5ValOpINSU_6ValLocIdlEENS_9operators7minimumEEEE_lNSU_15ForallParamPackIJNSU_6detail7ReducerINSZ_ISX_SX_SX_EESX_S10_EEEEES7_SB_TnNSt9enable_ifIXaaaasr3std10is_base_ofINS5_15StridedLoopBaseET4_EE5valuesr3std10is_base_ofINS5_15UnsizedLoopBaseES1B_EE5valuegtsrT5_10block_sizeLi0EEmE4typeELm256EEEvT1_T0_T2_T3_ ; -- Begin function _ZN4RAJA6policy3hip4impl18forallp_hip_kernelINS1_8hip_execINS_17iteration_mapping11StridedLoopILm0EEENS_3hip11IndexGlobalILNS_9named_dimE0ELi256ELi0EEENS8_40AvoidDeviceMaxThreadOccupancyConcretizerINS8_34FractionOffsetOccupancyConcretizerINS_8FractionImLm1ELm1EEELln1EEEEELb1EEENS_9Iterators16numeric_iteratorIllPlEEZN8rajaperf5lcals9FIRST_MIN26runHipVariantRAJANewReduceILm256ENSN_11gpu_mapping40global_loop_occupancy_grid_stride_helperEEEvNSN_9VariantIDEEUllRNS_4expt5ValOpINSU_6ValLocIdlEENS_9operators7minimumEEEE_lNSU_15ForallParamPackIJNSU_6detail7ReducerINSZ_ISX_SX_SX_EESX_S10_EEEEES7_SB_TnNSt9enable_ifIXaaaasr3std10is_base_ofINS5_15StridedLoopBaseET4_EE5valuesr3std10is_base_ofINS5_15UnsizedLoopBaseES1B_EE5valuegtsrT5_10block_sizeLi0EEmE4typeELm256EEEvT1_T0_T2_T3_
	.globl	_ZN4RAJA6policy3hip4impl18forallp_hip_kernelINS1_8hip_execINS_17iteration_mapping11StridedLoopILm0EEENS_3hip11IndexGlobalILNS_9named_dimE0ELi256ELi0EEENS8_40AvoidDeviceMaxThreadOccupancyConcretizerINS8_34FractionOffsetOccupancyConcretizerINS_8FractionImLm1ELm1EEELln1EEEEELb1EEENS_9Iterators16numeric_iteratorIllPlEEZN8rajaperf5lcals9FIRST_MIN26runHipVariantRAJANewReduceILm256ENSN_11gpu_mapping40global_loop_occupancy_grid_stride_helperEEEvNSN_9VariantIDEEUllRNS_4expt5ValOpINSU_6ValLocIdlEENS_9operators7minimumEEEE_lNSU_15ForallParamPackIJNSU_6detail7ReducerINSZ_ISX_SX_SX_EESX_S10_EEEEES7_SB_TnNSt9enable_ifIXaaaasr3std10is_base_ofINS5_15StridedLoopBaseET4_EE5valuesr3std10is_base_ofINS5_15UnsizedLoopBaseES1B_EE5valuegtsrT5_10block_sizeLi0EEmE4typeELm256EEEvT1_T0_T2_T3_
	.p2align	8
	.type	_ZN4RAJA6policy3hip4impl18forallp_hip_kernelINS1_8hip_execINS_17iteration_mapping11StridedLoopILm0EEENS_3hip11IndexGlobalILNS_9named_dimE0ELi256ELi0EEENS8_40AvoidDeviceMaxThreadOccupancyConcretizerINS8_34FractionOffsetOccupancyConcretizerINS_8FractionImLm1ELm1EEELln1EEEEELb1EEENS_9Iterators16numeric_iteratorIllPlEEZN8rajaperf5lcals9FIRST_MIN26runHipVariantRAJANewReduceILm256ENSN_11gpu_mapping40global_loop_occupancy_grid_stride_helperEEEvNSN_9VariantIDEEUllRNS_4expt5ValOpINSU_6ValLocIdlEENS_9operators7minimumEEEE_lNSU_15ForallParamPackIJNSU_6detail7ReducerINSZ_ISX_SX_SX_EESX_S10_EEEEES7_SB_TnNSt9enable_ifIXaaaasr3std10is_base_ofINS5_15StridedLoopBaseET4_EE5valuesr3std10is_base_ofINS5_15UnsizedLoopBaseES1B_EE5valuegtsrT5_10block_sizeLi0EEmE4typeELm256EEEvT1_T0_T2_T3_,@function
_ZN4RAJA6policy3hip4impl18forallp_hip_kernelINS1_8hip_execINS_17iteration_mapping11StridedLoopILm0EEENS_3hip11IndexGlobalILNS_9named_dimE0ELi256ELi0EEENS8_40AvoidDeviceMaxThreadOccupancyConcretizerINS8_34FractionOffsetOccupancyConcretizerINS_8FractionImLm1ELm1EEELln1EEEEELb1EEENS_9Iterators16numeric_iteratorIllPlEEZN8rajaperf5lcals9FIRST_MIN26runHipVariantRAJANewReduceILm256ENSN_11gpu_mapping40global_loop_occupancy_grid_stride_helperEEEvNSN_9VariantIDEEUllRNS_4expt5ValOpINSU_6ValLocIdlEENS_9operators7minimumEEEE_lNSU_15ForallParamPackIJNSU_6detail7ReducerINSZ_ISX_SX_SX_EESX_S10_EEEEES7_SB_TnNSt9enable_ifIXaaaasr3std10is_base_ofINS5_15StridedLoopBaseET4_EE5valuesr3std10is_base_ofINS5_15UnsizedLoopBaseES1B_EE5valuegtsrT5_10block_sizeLi0EEmE4typeELm256EEEvT1_T0_T2_T3_: ; @_ZN4RAJA6policy3hip4impl18forallp_hip_kernelINS1_8hip_execINS_17iteration_mapping11StridedLoopILm0EEENS_3hip11IndexGlobalILNS_9named_dimE0ELi256ELi0EEENS8_40AvoidDeviceMaxThreadOccupancyConcretizerINS8_34FractionOffsetOccupancyConcretizerINS_8FractionImLm1ELm1EEELln1EEEEELb1EEENS_9Iterators16numeric_iteratorIllPlEEZN8rajaperf5lcals9FIRST_MIN26runHipVariantRAJANewReduceILm256ENSN_11gpu_mapping40global_loop_occupancy_grid_stride_helperEEEvNSN_9VariantIDEEUllRNS_4expt5ValOpINSU_6ValLocIdlEENS_9operators7minimumEEEE_lNSU_15ForallParamPackIJNSU_6detail7ReducerINSZ_ISX_SX_SX_EESX_S10_EEEEES7_SB_TnNSt9enable_ifIXaaaasr3std10is_base_ofINS5_15StridedLoopBaseET4_EE5valuesr3std10is_base_ofINS5_15UnsizedLoopBaseES1B_EE5valuegtsrT5_10block_sizeLi0EEmE4typeELm256EEEvT1_T0_T2_T3_
; %bb.0:
	s_mov_b32 s7, 0
	s_load_dwordx8 s[8:15], s[4:5], 0x0
	s_lshl_b64 s[0:1], s[6:7], 8
	v_or_b32_e32 v7, s0, v0
	v_mov_b32_e32 v8, s1
	s_load_dwordx2 s[0:1], s[4:5], 0x20
	s_load_dword s20, s[4:5], 0x58
	s_waitcnt lgkmcnt(0)
	v_cmp_gt_i64_e32 vcc, s[12:13], v[7:8]
	s_add_u32 s22, s4, 0x58
	v_mov_b32_e32 v5, s14
	v_mov_b32_e32 v4, s1
	s_addc_u32 s23, s5, 0
	v_mov_b32_e32 v6, s15
	v_mov_b32_e32 v3, s0
	s_and_saveexec_b64 s[2:3], vcc
	s_cbranch_execz .LBB4_4
; %bb.1:
	s_mov_b32 s21, s7
	s_lshl_b64 s[18:19], s[20:21], 8
	v_mov_b32_e32 v5, s14
	v_mov_b32_e32 v4, s1
	s_mov_b64 s[16:17], 0
	v_mov_b32_e32 v6, s15
	v_mov_b32_e32 v3, s0
	;; [unrolled: 1-line block ×5, first 2 shown]
.LBB4_2:                                ; =>This Inner Loop Header: Depth=1
	v_add_co_u32_e32 v12, vcc, s10, v7
	v_addc_co_u32_e32 v13, vcc, v8, v9, vcc
	v_lshlrev_b64 v[14:15], 3, v[12:13]
	v_add_co_u32_e32 v14, vcc, s8, v14
	v_addc_co_u32_e32 v15, vcc, v10, v15, vcc
	global_load_dwordx2 v[14:15], v[14:15], off
	v_add_co_u32_e32 v7, vcc, s18, v7
	v_addc_co_u32_e32 v8, vcc, v11, v8, vcc
	v_cmp_le_i64_e32 vcc, s[12:13], v[7:8]
	s_or_b64 s[16:17], vcc, s[16:17]
	s_waitcnt vmcnt(0)
	v_cmp_lt_f64_e64 s[0:1], v[14:15], v[5:6]
	v_cndmask_b32_e64 v6, v6, v15, s[0:1]
	v_cndmask_b32_e64 v5, v5, v14, s[0:1]
	;; [unrolled: 1-line block ×4, first 2 shown]
	s_andn2_b64 exec, exec, s[16:17]
	s_cbranch_execnz .LBB4_2
; %bb.3:
	s_or_b64 exec, exec, s[16:17]
.LBB4_4:
	s_or_b64 exec, exec, s[2:3]
	v_mbcnt_lo_u32_b32 v7, -1, 0
	v_mbcnt_hi_u32_b32 v7, -1, v7
	v_and_b32_e32 v8, 64, v7
	v_add_u32_e32 v8, 64, v8
	v_xor_b32_e32 v9, 1, v7
	v_cmp_lt_i32_e32 vcc, v9, v8
	v_cndmask_b32_e32 v9, v7, v9, vcc
	v_lshlrev_b32_e32 v9, 2, v9
	ds_bpermute_b32 v11, v9, v5
	ds_bpermute_b32 v12, v9, v6
	v_xor_b32_e32 v10, 2, v7
	v_cmp_lt_i32_e64 s[0:1], v10, v8
	v_cndmask_b32_e64 v10, v7, v10, s[0:1]
	v_lshlrev_b32_e32 v10, 2, v10
	s_waitcnt lgkmcnt(0)
	v_cmp_gt_f64_e32 vcc, v[5:6], v[11:12]
	s_load_dwordx8 s[12:19], s[4:5], 0x38
	ds_bpermute_b32 v18, v9, v4
	ds_bpermute_b32 v19, v9, v3
	v_xor_b32_e32 v17, 16, v7
	v_cmp_lt_i32_e64 s[8:9], v17, v8
	v_cndmask_b32_e32 v6, v6, v12, vcc
	v_cndmask_b32_e32 v5, v5, v11, vcc
	ds_bpermute_b32 v13, v10, v6
	ds_bpermute_b32 v12, v10, v5
	v_xor_b32_e32 v11, 4, v7
	v_cmp_lt_i32_e64 s[2:3], v11, v8
	v_cndmask_b32_e64 v11, v7, v11, s[2:3]
	v_lshlrev_b32_e32 v11, 2, v11
	s_waitcnt lgkmcnt(0)
	v_cmp_gt_f64_e64 s[0:1], v[5:6], v[12:13]
	v_cndmask_b32_e32 v4, v4, v18, vcc
	ds_bpermute_b32 v18, v10, v4
	v_cndmask_b32_e64 v6, v6, v13, s[0:1]
	v_cndmask_b32_e64 v5, v5, v12, s[0:1]
	ds_bpermute_b32 v14, v11, v6
	ds_bpermute_b32 v13, v11, v5
	v_xor_b32_e32 v12, 8, v7
	v_cmp_lt_i32_e64 s[4:5], v12, v8
	v_cndmask_b32_e64 v12, v7, v12, s[4:5]
	v_lshlrev_b32_e32 v12, 2, v12
	s_waitcnt lgkmcnt(0)
	v_cmp_gt_f64_e64 s[2:3], v[5:6], v[13:14]
	v_cndmask_b32_e64 v18, v4, v18, s[0:1]
	ds_bpermute_b32 v20, v11, v18
	v_cndmask_b32_e64 v6, v6, v14, s[2:3]
	v_cndmask_b32_e64 v5, v5, v13, s[2:3]
	ds_bpermute_b32 v16, v12, v6
	ds_bpermute_b32 v15, v12, v5
	v_cndmask_b32_e64 v14, v7, v17, s[8:9]
	v_cndmask_b32_e32 v17, v3, v19, vcc
	ds_bpermute_b32 v19, v10, v17
	v_lshlrev_b32_e32 v14, 2, v14
	s_waitcnt lgkmcnt(1)
	v_cmp_gt_f64_e64 s[4:5], v[5:6], v[15:16]
	v_xor_b32_e32 v13, 32, v7
	v_cndmask_b32_e64 v18, v18, v20, s[2:3]
	v_cndmask_b32_e64 v4, v6, v16, s[4:5]
	;; [unrolled: 1-line block ×3, first 2 shown]
	ds_bpermute_b32 v6, v14, v4
	ds_bpermute_b32 v5, v14, v3
	s_waitcnt lgkmcnt(2)
	v_cndmask_b32_e64 v16, v17, v19, s[0:1]
	ds_bpermute_b32 v17, v11, v16
	v_cmp_lt_i32_e64 s[0:1], v13, v8
	v_cndmask_b32_e64 v8, v7, v13, s[0:1]
	s_waitcnt lgkmcnt(1)
	v_cmp_gt_f64_e32 vcc, v[3:4], v[5:6]
	v_lshlrev_b32_e32 v15, 2, v8
	s_waitcnt lgkmcnt(0)
	v_cndmask_b32_e64 v8, v16, v17, s[2:3]
	ds_bpermute_b32 v19, v12, v18
	ds_bpermute_b32 v13, v12, v8
	v_cndmask_b32_e32 v4, v4, v6, vcc
	v_cndmask_b32_e32 v3, v3, v5, vcc
	ds_bpermute_b32 v6, v15, v4
	ds_bpermute_b32 v5, v15, v3
	s_waitcnt lgkmcnt(3)
	v_cndmask_b32_e64 v16, v18, v19, s[4:5]
	s_waitcnt lgkmcnt(2)
	v_cndmask_b32_e64 v8, v8, v13, s[4:5]
	ds_bpermute_b32 v13, v14, v16
	ds_bpermute_b32 v17, v14, v8
	s_waitcnt lgkmcnt(2)
	v_cmp_gt_f64_e64 s[0:1], v[3:4], v[5:6]
	s_waitcnt lgkmcnt(1)
	v_cndmask_b32_e32 v16, v16, v13, vcc
	s_waitcnt lgkmcnt(0)
	v_cndmask_b32_e32 v8, v8, v17, vcc
	ds_bpermute_b32 v17, v15, v16
	ds_bpermute_b32 v18, v15, v8
	v_and_b32_e32 v13, 63, v0
	v_cndmask_b32_e64 v4, v4, v6, s[0:1]
	v_cndmask_b32_e64 v3, v3, v5, s[0:1]
	s_waitcnt lgkmcnt(1)
	v_cndmask_b32_e64 v6, v16, v17, s[0:1]
	s_waitcnt lgkmcnt(0)
	v_cndmask_b32_e64 v5, v8, v18, s[0:1]
	v_cmp_eq_u32_e64 s[2:3], 0, v13
	s_and_saveexec_b64 s[0:1], s[2:3]
; %bb.5:
	v_lshrrev_b32_e32 v8, 2, v0
	ds_write2_b64 v8, v[3:4], v[5:6] offset1:1
; %bb.6:
	s_or_b64 exec, exec, s[0:1]
	v_cmp_gt_u32_e64 s[0:1], 64, v0
	s_waitcnt lgkmcnt(0)
	s_barrier
	s_and_saveexec_b64 s[10:11], s[0:1]
	s_cbranch_execz .LBB4_10
; %bb.7:
	v_mov_b32_e32 v5, -1
	v_cmp_gt_u32_e32 vcc, 4, v13
	v_mov_b32_e32 v6, -1
	v_mov_b32_e32 v3, -1
	v_mov_b32_e32 v4, 0x7fefffff
	s_and_saveexec_b64 s[4:5], vcc
; %bb.8:
	v_lshlrev_b32_e32 v3, 4, v13
	ds_read_b128 v[3:6], v3
; %bb.9:
	s_or_b64 exec, exec, s[4:5]
	s_waitcnt lgkmcnt(0)
	ds_bpermute_b32 v8, v9, v4
	ds_bpermute_b32 v16, v9, v3
	;; [unrolled: 1-line block ×3, first 2 shown]
	s_waitcnt lgkmcnt(2)
	v_mov_b32_e32 v17, v8
	s_waitcnt lgkmcnt(1)
	v_cmp_gt_f64_e32 vcc, v[3:4], v[16:17]
	v_cndmask_b32_e32 v4, v4, v8, vcc
	ds_bpermute_b32 v8, v10, v4
	v_cndmask_b32_e32 v3, v3, v16, vcc
	ds_bpermute_b32 v16, v10, v3
	s_waitcnt lgkmcnt(1)
	v_mov_b32_e32 v17, v8
	s_waitcnt lgkmcnt(0)
	v_cmp_gt_f64_e64 s[4:5], v[3:4], v[16:17]
	ds_bpermute_b32 v17, v9, v6
	s_waitcnt lgkmcnt(0)
	v_cndmask_b32_e32 v6, v6, v17, vcc
	ds_bpermute_b32 v19, v10, v6
	v_cndmask_b32_e64 v4, v4, v8, s[4:5]
	ds_bpermute_b32 v8, v11, v4
	v_cndmask_b32_e64 v3, v3, v16, s[4:5]
	ds_bpermute_b32 v16, v11, v3
	s_waitcnt lgkmcnt(2)
	v_cndmask_b32_e64 v19, v6, v19, s[4:5]
	s_waitcnt lgkmcnt(1)
	v_mov_b32_e32 v17, v8
	s_waitcnt lgkmcnt(0)
	v_cmp_gt_f64_e64 s[8:9], v[3:4], v[16:17]
	v_cndmask_b32_e32 v17, v5, v18, vcc
	ds_bpermute_b32 v18, v10, v17
	v_cndmask_b32_e64 v4, v4, v8, s[8:9]
	ds_bpermute_b32 v8, v12, v4
	v_cndmask_b32_e64 v3, v3, v16, s[8:9]
	ds_bpermute_b32 v5, v12, v3
	s_waitcnt lgkmcnt(2)
	v_cndmask_b32_e64 v16, v17, v18, s[4:5]
	ds_bpermute_b32 v17, v11, v19
	ds_bpermute_b32 v18, v11, v16
	s_waitcnt lgkmcnt(3)
	v_mov_b32_e32 v6, v8
	s_waitcnt lgkmcnt(2)
	v_cmp_gt_f64_e32 vcc, v[3:4], v[5:6]
	s_waitcnt lgkmcnt(1)
	v_cndmask_b32_e64 v6, v19, v17, s[8:9]
	s_waitcnt lgkmcnt(0)
	v_cndmask_b32_e64 v16, v16, v18, s[8:9]
	ds_bpermute_b32 v17, v12, v6
	ds_bpermute_b32 v18, v12, v16
	v_cndmask_b32_e32 v4, v4, v8, vcc
	v_cndmask_b32_e32 v3, v3, v5, vcc
	s_waitcnt lgkmcnt(1)
	v_cndmask_b32_e32 v6, v6, v17, vcc
	s_waitcnt lgkmcnt(0)
	v_cndmask_b32_e32 v5, v16, v18, vcc
.LBB4_10:
	s_or_b64 exec, exec, s[10:11]
	v_mov_b32_e32 v8, 0
	v_cmp_eq_u32_e64 s[4:5], 0, v0
	v_mov_b32_e32 v16, 0
	s_barrier
	s_and_saveexec_b64 s[8:9], s[4:5]
	s_cbranch_execz .LBB4_12
; %bb.11:
	s_ashr_i32 s7, s6, 31
	s_add_i32 s21, s20, -1
	s_lshl_b64 s[10:11], s[6:7], 3
	s_add_u32 s24, s14, s10
	s_addc_u32 s25, s15, s11
	v_mov_b32_e32 v16, 0
	s_add_u32 s10, s16, s10
	global_store_dwordx2 v16, v[3:4], s[24:25]
	s_addc_u32 s11, s17, s11
	v_mov_b32_e32 v3, s21
	global_store_dwordx2 v16, v[5:6], s[10:11]
	s_waitcnt vmcnt(0)
	buffer_wbinvl1_vol
	global_atomic_inc v3, v16, v3, s[18:19] glc
	s_waitcnt vmcnt(0)
	v_cmp_eq_u32_e32 vcc, s21, v3
	v_cndmask_b32_e64 v16, 0, 1, vcc
.LBB4_12:
	s_or_b64 exec, exec, s[8:9]
	global_load_dword v3, v8, s[22:23] offset:14
	v_or_b32_dpp v4, v16, v16 row_shl:1 row_mask:0xf bank_mask:0xf bound_ctrl:1
	s_waitcnt vmcnt(0)
	v_readfirstlane_b32 s7, v3
	s_lshr_b32 s10, s7, 16
	s_and_b32 s7, s7, 0xffff
	s_cmp_lt_u32 s6, s20
	s_cselect_b32 s6, 12, 18
	s_add_u32 s8, s22, s6
	s_addc_u32 s9, s23, 0
	global_load_ushort v3, v8, s[8:9]
	v_or_b32_dpp v4, v4, v4 row_shl:2 row_mask:0xf bank_mask:0xf bound_ctrl:1
	s_waitcnt vmcnt(0)
	v_readfirstlane_b32 s9, v3
	v_or_b32_dpp v4, v4, v4 row_shl:4 row_mask:0xf bank_mask:0xf bound_ctrl:1
	s_mul_i32 s9, s7, s9
	s_bfe_i32 s9, s9, 0x180000
	v_or_b32_dpp v4, v4, v4 row_shl:8 row_mask:0xf bank_mask:0xf bound_ctrl:1
	s_mul_i32 s9, s9, s10
	s_add_i32 s9, s9, 63
	v_mov_b32_dpp v5, v4 wave_shl:1 row_mask:0xf bank_mask:0xf bound_ctrl:1
	s_bitcmp1_b32 exec_hi, 0
	s_nop 0
	v_or_b32_dpp v4, v5, v4 row_mirror row_mask:0xf bank_mask:0xf bound_ctrl:1
	v_readlane_b32 s6, v4, 32
	v_readlane_b32 s8, v4, 0
	s_cselect_b32 s6, s6, 0
	s_or_b32 s8, s6, s8
	s_andn2_b32 s9, s9, 63
	s_cmp_eq_u32 s9, 64
	v_mov_b32_e32 v4, s8
	s_cbranch_scc1 .LBB4_19
; %bb.13:
	v_mad_u32_u24 v1, v2, s7, v1
	v_mad_u64_u32 v[1:2], s[6:7], v1, v3, v[0:1]
	v_lshrrev_b32_e32 v2, 6, v1
	v_or_b32_e32 v2, v2, v7
	v_cmp_eq_u32_e32 vcc, 0, v2
	s_and_saveexec_b64 s[6:7], vcc
; %bb.14:
	v_mov_b32_e32 v2, 0
	v_mov_b32_e32 v3, s8
	ds_write_b32 v2, v3 offset:256
; %bb.15:
	s_or_b64 exec, exec, s[6:7]
	v_cmp_eq_u32_e32 vcc, 0, v7
	v_cmp_lt_u32_e64 s[6:7], 63, v1
	s_and_b64 s[10:11], vcc, s[6:7]
	s_waitcnt lgkmcnt(0)
	s_barrier
	s_and_saveexec_b64 s[6:7], s[10:11]
	s_cbranch_execz .LBB4_18
; %bb.16:
	v_mbcnt_lo_u32_b32 v1, exec_lo, 0
	v_mbcnt_hi_u32_b32 v1, exec_hi, v1
	v_cmp_eq_u32_e32 vcc, 0, v1
	s_and_b64 exec, exec, vcc
; %bb.17:
	v_mov_b32_e32 v1, 0
	v_mov_b32_e32 v2, s8
	ds_or_b32 v1, v2 offset:256
.LBB4_18:
	s_or_b64 exec, exec, s[6:7]
	v_mov_b32_e32 v1, 0
	s_waitcnt lgkmcnt(0)
	s_barrier
	ds_read_b32 v4, v1 offset:256
	s_waitcnt lgkmcnt(0)
	s_barrier
.LBB4_19:
	v_cmp_eq_u32_e32 vcc, 0, v4
	s_cbranch_vccnz .LBB4_32
; %bb.20:
	v_mov_b32_e32 v1, -1
	v_cmp_gt_i32_e32 vcc, s20, v0
	v_mov_b32_e32 v2, -1
	v_mov_b32_e32 v3, -1
	v_mov_b32_e32 v4, 0x7fefffff
	buffer_wbinvl1_vol
	s_and_saveexec_b64 s[10:11], vcc
	s_cbranch_execz .LBB4_24
; %bb.21:
	v_lshlrev_b32_e32 v1, 3, v0
	v_mov_b32_e32 v2, s15
	v_add_co_u32_e32 v5, vcc, s14, v1
	v_addc_co_u32_e32 v6, vcc, 0, v2, vcc
	v_mov_b32_e32 v2, s17
	v_add_co_u32_e32 v7, vcc, s16, v1
	v_addc_co_u32_e32 v8, vcc, 0, v2, vcc
	v_mov_b32_e32 v1, -1
	v_mov_b32_e32 v2, -1
	s_mov_b64 s[14:15], 0
	v_mov_b32_e32 v16, v0
.LBB4_22:                               ; =>This Inner Loop Header: Depth=1
	global_load_dwordx2 v[17:18], v[5:6], off
	global_load_dwordx2 v[19:20], v[7:8], off
	v_add_co_u32_e32 v5, vcc, 0x800, v5
	v_add_u32_e32 v16, 0x100, v16
	v_addc_co_u32_e32 v6, vcc, 0, v6, vcc
	v_add_co_u32_e32 v7, vcc, 0x800, v7
	v_cmp_le_i32_e64 s[6:7], s20, v16
	v_addc_co_u32_e32 v8, vcc, 0, v8, vcc
	s_or_b64 s[14:15], s[6:7], s[14:15]
	s_waitcnt vmcnt(1)
	v_cmp_lt_f64_e64 s[8:9], v[17:18], v[3:4]
	v_cndmask_b32_e64 v4, v4, v18, s[8:9]
	v_cndmask_b32_e64 v3, v3, v17, s[8:9]
	s_waitcnt vmcnt(0)
	v_cndmask_b32_e64 v2, v2, v20, s[8:9]
	v_cndmask_b32_e64 v1, v1, v19, s[8:9]
	s_andn2_b64 exec, exec, s[14:15]
	s_cbranch_execnz .LBB4_22
; %bb.23:
	s_or_b64 exec, exec, s[14:15]
.LBB4_24:
	s_or_b64 exec, exec, s[10:11]
	ds_bpermute_b32 v5, v9, v3
	ds_bpermute_b32 v6, v9, v4
	;; [unrolled: 1-line block ×4, first 2 shown]
	s_waitcnt lgkmcnt(2)
	v_cmp_gt_f64_e32 vcc, v[3:4], v[5:6]
	v_cndmask_b32_e32 v4, v4, v6, vcc
	v_cndmask_b32_e32 v3, v3, v5, vcc
	ds_bpermute_b32 v6, v10, v4
	ds_bpermute_b32 v5, v10, v3
	s_waitcnt lgkmcnt(3)
	v_cndmask_b32_e32 v2, v2, v7, vcc
	ds_bpermute_b32 v7, v10, v2
	s_waitcnt lgkmcnt(3)
	v_cndmask_b32_e32 v8, v1, v8, vcc
	ds_bpermute_b32 v16, v10, v8
	s_waitcnt lgkmcnt(2)
	v_cmp_gt_f64_e64 s[6:7], v[3:4], v[5:6]
	v_cndmask_b32_e64 v4, v4, v6, s[6:7]
	v_cndmask_b32_e64 v3, v3, v5, s[6:7]
	ds_bpermute_b32 v6, v11, v4
	ds_bpermute_b32 v5, v11, v3
	s_waitcnt lgkmcnt(3)
	v_cndmask_b32_e64 v7, v2, v7, s[6:7]
	ds_bpermute_b32 v17, v11, v7
	s_waitcnt lgkmcnt(1)
	v_cmp_gt_f64_e64 s[8:9], v[3:4], v[5:6]
	v_cndmask_b32_e64 v4, v4, v6, s[8:9]
	v_cndmask_b32_e64 v3, v3, v5, s[8:9]
	ds_bpermute_b32 v6, v12, v4
	ds_bpermute_b32 v5, v12, v3
	s_waitcnt lgkmcnt(2)
	v_cndmask_b32_e64 v7, v7, v17, s[8:9]
	s_waitcnt lgkmcnt(0)
	v_cmp_gt_f64_e64 s[10:11], v[3:4], v[5:6]
	v_cndmask_b32_e64 v2, v4, v6, s[10:11]
	v_cndmask_b32_e64 v1, v3, v5, s[10:11]
	ds_bpermute_b32 v4, v14, v2
	ds_bpermute_b32 v3, v14, v1
	v_cndmask_b32_e64 v5, v8, v16, s[6:7]
	ds_bpermute_b32 v6, v11, v5
	ds_bpermute_b32 v8, v12, v7
	s_waitcnt lgkmcnt(2)
	v_cmp_gt_f64_e32 vcc, v[1:2], v[3:4]
	s_waitcnt lgkmcnt(1)
	v_cndmask_b32_e64 v5, v5, v6, s[8:9]
	ds_bpermute_b32 v6, v12, v5
	s_waitcnt lgkmcnt(1)
	v_cndmask_b32_e64 v7, v7, v8, s[10:11]
	v_cndmask_b32_e32 v2, v2, v4, vcc
	v_cndmask_b32_e32 v1, v1, v3, vcc
	ds_bpermute_b32 v4, v15, v2
	ds_bpermute_b32 v3, v15, v1
	s_waitcnt lgkmcnt(2)
	v_cndmask_b32_e64 v5, v5, v6, s[10:11]
	ds_bpermute_b32 v6, v14, v7
	ds_bpermute_b32 v8, v14, v5
	s_waitcnt lgkmcnt(2)
	v_cmp_gt_f64_e64 s[6:7], v[1:2], v[3:4]
	s_waitcnt lgkmcnt(1)
	v_cndmask_b32_e32 v6, v7, v6, vcc
	s_waitcnt lgkmcnt(0)
	v_cndmask_b32_e32 v5, v5, v8, vcc
	ds_bpermute_b32 v7, v15, v6
	ds_bpermute_b32 v8, v15, v5
	v_cndmask_b32_e64 v2, v2, v4, s[6:7]
	v_cndmask_b32_e64 v1, v1, v3, s[6:7]
	s_waitcnt lgkmcnt(1)
	v_cndmask_b32_e64 v4, v6, v7, s[6:7]
	s_waitcnt lgkmcnt(0)
	v_cndmask_b32_e64 v3, v5, v8, s[6:7]
	s_and_saveexec_b64 s[6:7], s[2:3]
; %bb.25:
	v_lshrrev_b32_e32 v0, 2, v0
	ds_write2_b64 v0, v[1:2], v[3:4] offset1:1
; %bb.26:
	s_or_b64 exec, exec, s[6:7]
	s_waitcnt lgkmcnt(0)
	s_barrier
	s_and_saveexec_b64 s[6:7], s[0:1]
	s_cbranch_execz .LBB4_30
; %bb.27:
	v_mov_b32_e32 v2, -1
	v_cmp_gt_u32_e32 vcc, 4, v13
	v_mov_b32_e32 v3, -1
	v_mov_b32_e32 v0, -1
	v_mov_b32_e32 v1, 0x7fefffff
	s_and_saveexec_b64 s[0:1], vcc
; %bb.28:
	v_lshlrev_b32_e32 v0, 4, v13
	ds_read_b128 v[0:3], v0
; %bb.29:
	s_or_b64 exec, exec, s[0:1]
	s_waitcnt lgkmcnt(0)
	ds_bpermute_b32 v6, v9, v1
	ds_bpermute_b32 v4, v9, v0
	;; [unrolled: 1-line block ×3, first 2 shown]
	s_waitcnt lgkmcnt(2)
	v_mov_b32_e32 v5, v6
	s_waitcnt lgkmcnt(1)
	v_cmp_gt_f64_e32 vcc, v[0:1], v[4:5]
	v_cndmask_b32_e32 v1, v1, v6, vcc
	ds_bpermute_b32 v6, v10, v1
	v_cndmask_b32_e32 v0, v0, v4, vcc
	ds_bpermute_b32 v4, v10, v0
	s_waitcnt lgkmcnt(2)
	v_cndmask_b32_e32 v2, v2, v7, vcc
	s_waitcnt lgkmcnt(1)
	v_mov_b32_e32 v5, v6
	s_waitcnt lgkmcnt(0)
	v_cmp_gt_f64_e64 s[0:1], v[0:1], v[4:5]
	ds_bpermute_b32 v5, v9, v3
	s_waitcnt lgkmcnt(0)
	v_cndmask_b32_e32 v3, v3, v5, vcc
	ds_bpermute_b32 v8, v10, v3
	v_cndmask_b32_e64 v1, v1, v6, s[0:1]
	ds_bpermute_b32 v6, v11, v1
	v_cndmask_b32_e64 v0, v0, v4, s[0:1]
	ds_bpermute_b32 v4, v11, v0
	s_waitcnt lgkmcnt(2)
	v_cndmask_b32_e64 v7, v3, v8, s[0:1]
	s_waitcnt lgkmcnt(1)
	v_mov_b32_e32 v5, v6
	s_waitcnt lgkmcnt(0)
	v_cmp_gt_f64_e64 s[2:3], v[0:1], v[4:5]
	ds_bpermute_b32 v5, v10, v2
	s_waitcnt lgkmcnt(0)
	v_cndmask_b32_e64 v2, v2, v5, s[0:1]
	ds_bpermute_b32 v5, v11, v7
	v_cndmask_b32_e64 v1, v1, v6, s[2:3]
	ds_bpermute_b32 v6, v12, v1
	v_cndmask_b32_e64 v0, v0, v4, s[2:3]
	ds_bpermute_b32 v3, v12, v0
	ds_bpermute_b32 v8, v11, v2
	s_waitcnt lgkmcnt(2)
	v_mov_b32_e32 v4, v6
	s_waitcnt lgkmcnt(1)
	v_cmp_gt_f64_e32 vcc, v[0:1], v[3:4]
	v_cndmask_b32_e64 v4, v7, v5, s[2:3]
	s_waitcnt lgkmcnt(0)
	v_cndmask_b32_e64 v5, v2, v8, s[2:3]
	ds_bpermute_b32 v7, v12, v4
	ds_bpermute_b32 v8, v12, v5
	v_cndmask_b32_e32 v2, v1, v6, vcc
	v_cndmask_b32_e32 v1, v0, v3, vcc
	s_waitcnt lgkmcnt(1)
	v_cndmask_b32_e32 v4, v4, v7, vcc
	s_waitcnt lgkmcnt(0)
	v_cndmask_b32_e32 v3, v5, v8, vcc
.LBB4_30:
	s_or_b64 exec, exec, s[6:7]
	s_barrier
	s_and_saveexec_b64 s[0:1], s[4:5]
	s_cbranch_execz .LBB4_32
; %bb.31:
	v_mov_b32_e32 v0, 0
	global_store_dwordx4 v0, v[1:4], s[12:13]
.LBB4_32:
	s_endpgm
	.section	.rodata,"a",@progbits
	.p2align	6, 0x0
	.amdhsa_kernel _ZN4RAJA6policy3hip4impl18forallp_hip_kernelINS1_8hip_execINS_17iteration_mapping11StridedLoopILm0EEENS_3hip11IndexGlobalILNS_9named_dimE0ELi256ELi0EEENS8_40AvoidDeviceMaxThreadOccupancyConcretizerINS8_34FractionOffsetOccupancyConcretizerINS_8FractionImLm1ELm1EEELln1EEEEELb1EEENS_9Iterators16numeric_iteratorIllPlEEZN8rajaperf5lcals9FIRST_MIN26runHipVariantRAJANewReduceILm256ENSN_11gpu_mapping40global_loop_occupancy_grid_stride_helperEEEvNSN_9VariantIDEEUllRNS_4expt5ValOpINSU_6ValLocIdlEENS_9operators7minimumEEEE_lNSU_15ForallParamPackIJNSU_6detail7ReducerINSZ_ISX_SX_SX_EESX_S10_EEEEES7_SB_TnNSt9enable_ifIXaaaasr3std10is_base_ofINS5_15StridedLoopBaseET4_EE5valuesr3std10is_base_ofINS5_15UnsizedLoopBaseES1B_EE5valuegtsrT5_10block_sizeLi0EEmE4typeELm256EEEvT1_T0_T2_T3_
		.amdhsa_group_segment_fixed_size 512
		.amdhsa_private_segment_fixed_size 0
		.amdhsa_kernarg_size 344
		.amdhsa_user_sgpr_count 6
		.amdhsa_user_sgpr_private_segment_buffer 1
		.amdhsa_user_sgpr_dispatch_ptr 0
		.amdhsa_user_sgpr_queue_ptr 0
		.amdhsa_user_sgpr_kernarg_segment_ptr 1
		.amdhsa_user_sgpr_dispatch_id 0
		.amdhsa_user_sgpr_flat_scratch_init 0
		.amdhsa_user_sgpr_private_segment_size 0
		.amdhsa_uses_dynamic_stack 0
		.amdhsa_system_sgpr_private_segment_wavefront_offset 0
		.amdhsa_system_sgpr_workgroup_id_x 1
		.amdhsa_system_sgpr_workgroup_id_y 0
		.amdhsa_system_sgpr_workgroup_id_z 0
		.amdhsa_system_sgpr_workgroup_info 0
		.amdhsa_system_vgpr_workitem_id 2
		.amdhsa_next_free_vgpr 21
		.amdhsa_next_free_sgpr 26
		.amdhsa_reserve_vcc 1
		.amdhsa_reserve_flat_scratch 0
		.amdhsa_float_round_mode_32 0
		.amdhsa_float_round_mode_16_64 0
		.amdhsa_float_denorm_mode_32 3
		.amdhsa_float_denorm_mode_16_64 3
		.amdhsa_dx10_clamp 1
		.amdhsa_ieee_mode 1
		.amdhsa_fp16_overflow 0
		.amdhsa_exception_fp_ieee_invalid_op 0
		.amdhsa_exception_fp_denorm_src 0
		.amdhsa_exception_fp_ieee_div_zero 0
		.amdhsa_exception_fp_ieee_overflow 0
		.amdhsa_exception_fp_ieee_underflow 0
		.amdhsa_exception_fp_ieee_inexact 0
		.amdhsa_exception_int_div_zero 0
	.end_amdhsa_kernel
	.section	.text._ZN4RAJA6policy3hip4impl18forallp_hip_kernelINS1_8hip_execINS_17iteration_mapping11StridedLoopILm0EEENS_3hip11IndexGlobalILNS_9named_dimE0ELi256ELi0EEENS8_40AvoidDeviceMaxThreadOccupancyConcretizerINS8_34FractionOffsetOccupancyConcretizerINS_8FractionImLm1ELm1EEELln1EEEEELb1EEENS_9Iterators16numeric_iteratorIllPlEEZN8rajaperf5lcals9FIRST_MIN26runHipVariantRAJANewReduceILm256ENSN_11gpu_mapping40global_loop_occupancy_grid_stride_helperEEEvNSN_9VariantIDEEUllRNS_4expt5ValOpINSU_6ValLocIdlEENS_9operators7minimumEEEE_lNSU_15ForallParamPackIJNSU_6detail7ReducerINSZ_ISX_SX_SX_EESX_S10_EEEEES7_SB_TnNSt9enable_ifIXaaaasr3std10is_base_ofINS5_15StridedLoopBaseET4_EE5valuesr3std10is_base_ofINS5_15UnsizedLoopBaseES1B_EE5valuegtsrT5_10block_sizeLi0EEmE4typeELm256EEEvT1_T0_T2_T3_,"axG",@progbits,_ZN4RAJA6policy3hip4impl18forallp_hip_kernelINS1_8hip_execINS_17iteration_mapping11StridedLoopILm0EEENS_3hip11IndexGlobalILNS_9named_dimE0ELi256ELi0EEENS8_40AvoidDeviceMaxThreadOccupancyConcretizerINS8_34FractionOffsetOccupancyConcretizerINS_8FractionImLm1ELm1EEELln1EEEEELb1EEENS_9Iterators16numeric_iteratorIllPlEEZN8rajaperf5lcals9FIRST_MIN26runHipVariantRAJANewReduceILm256ENSN_11gpu_mapping40global_loop_occupancy_grid_stride_helperEEEvNSN_9VariantIDEEUllRNS_4expt5ValOpINSU_6ValLocIdlEENS_9operators7minimumEEEE_lNSU_15ForallParamPackIJNSU_6detail7ReducerINSZ_ISX_SX_SX_EESX_S10_EEEEES7_SB_TnNSt9enable_ifIXaaaasr3std10is_base_ofINS5_15StridedLoopBaseET4_EE5valuesr3std10is_base_ofINS5_15UnsizedLoopBaseES1B_EE5valuegtsrT5_10block_sizeLi0EEmE4typeELm256EEEvT1_T0_T2_T3_,comdat
.Lfunc_end4:
	.size	_ZN4RAJA6policy3hip4impl18forallp_hip_kernelINS1_8hip_execINS_17iteration_mapping11StridedLoopILm0EEENS_3hip11IndexGlobalILNS_9named_dimE0ELi256ELi0EEENS8_40AvoidDeviceMaxThreadOccupancyConcretizerINS8_34FractionOffsetOccupancyConcretizerINS_8FractionImLm1ELm1EEELln1EEEEELb1EEENS_9Iterators16numeric_iteratorIllPlEEZN8rajaperf5lcals9FIRST_MIN26runHipVariantRAJANewReduceILm256ENSN_11gpu_mapping40global_loop_occupancy_grid_stride_helperEEEvNSN_9VariantIDEEUllRNS_4expt5ValOpINSU_6ValLocIdlEENS_9operators7minimumEEEE_lNSU_15ForallParamPackIJNSU_6detail7ReducerINSZ_ISX_SX_SX_EESX_S10_EEEEES7_SB_TnNSt9enable_ifIXaaaasr3std10is_base_ofINS5_15StridedLoopBaseET4_EE5valuesr3std10is_base_ofINS5_15UnsizedLoopBaseES1B_EE5valuegtsrT5_10block_sizeLi0EEmE4typeELm256EEEvT1_T0_T2_T3_, .Lfunc_end4-_ZN4RAJA6policy3hip4impl18forallp_hip_kernelINS1_8hip_execINS_17iteration_mapping11StridedLoopILm0EEENS_3hip11IndexGlobalILNS_9named_dimE0ELi256ELi0EEENS8_40AvoidDeviceMaxThreadOccupancyConcretizerINS8_34FractionOffsetOccupancyConcretizerINS_8FractionImLm1ELm1EEELln1EEEEELb1EEENS_9Iterators16numeric_iteratorIllPlEEZN8rajaperf5lcals9FIRST_MIN26runHipVariantRAJANewReduceILm256ENSN_11gpu_mapping40global_loop_occupancy_grid_stride_helperEEEvNSN_9VariantIDEEUllRNS_4expt5ValOpINSU_6ValLocIdlEENS_9operators7minimumEEEE_lNSU_15ForallParamPackIJNSU_6detail7ReducerINSZ_ISX_SX_SX_EESX_S10_EEEEES7_SB_TnNSt9enable_ifIXaaaasr3std10is_base_ofINS5_15StridedLoopBaseET4_EE5valuesr3std10is_base_ofINS5_15UnsizedLoopBaseES1B_EE5valuegtsrT5_10block_sizeLi0EEmE4typeELm256EEEvT1_T0_T2_T3_
                                        ; -- End function
	.set _ZN4RAJA6policy3hip4impl18forallp_hip_kernelINS1_8hip_execINS_17iteration_mapping11StridedLoopILm0EEENS_3hip11IndexGlobalILNS_9named_dimE0ELi256ELi0EEENS8_40AvoidDeviceMaxThreadOccupancyConcretizerINS8_34FractionOffsetOccupancyConcretizerINS_8FractionImLm1ELm1EEELln1EEEEELb1EEENS_9Iterators16numeric_iteratorIllPlEEZN8rajaperf5lcals9FIRST_MIN26runHipVariantRAJANewReduceILm256ENSN_11gpu_mapping40global_loop_occupancy_grid_stride_helperEEEvNSN_9VariantIDEEUllRNS_4expt5ValOpINSU_6ValLocIdlEENS_9operators7minimumEEEE_lNSU_15ForallParamPackIJNSU_6detail7ReducerINSZ_ISX_SX_SX_EESX_S10_EEEEES7_SB_TnNSt9enable_ifIXaaaasr3std10is_base_ofINS5_15StridedLoopBaseET4_EE5valuesr3std10is_base_ofINS5_15UnsizedLoopBaseES1B_EE5valuegtsrT5_10block_sizeLi0EEmE4typeELm256EEEvT1_T0_T2_T3_.num_vgpr, 21
	.set _ZN4RAJA6policy3hip4impl18forallp_hip_kernelINS1_8hip_execINS_17iteration_mapping11StridedLoopILm0EEENS_3hip11IndexGlobalILNS_9named_dimE0ELi256ELi0EEENS8_40AvoidDeviceMaxThreadOccupancyConcretizerINS8_34FractionOffsetOccupancyConcretizerINS_8FractionImLm1ELm1EEELln1EEEEELb1EEENS_9Iterators16numeric_iteratorIllPlEEZN8rajaperf5lcals9FIRST_MIN26runHipVariantRAJANewReduceILm256ENSN_11gpu_mapping40global_loop_occupancy_grid_stride_helperEEEvNSN_9VariantIDEEUllRNS_4expt5ValOpINSU_6ValLocIdlEENS_9operators7minimumEEEE_lNSU_15ForallParamPackIJNSU_6detail7ReducerINSZ_ISX_SX_SX_EESX_S10_EEEEES7_SB_TnNSt9enable_ifIXaaaasr3std10is_base_ofINS5_15StridedLoopBaseET4_EE5valuesr3std10is_base_ofINS5_15UnsizedLoopBaseES1B_EE5valuegtsrT5_10block_sizeLi0EEmE4typeELm256EEEvT1_T0_T2_T3_.num_agpr, 0
	.set _ZN4RAJA6policy3hip4impl18forallp_hip_kernelINS1_8hip_execINS_17iteration_mapping11StridedLoopILm0EEENS_3hip11IndexGlobalILNS_9named_dimE0ELi256ELi0EEENS8_40AvoidDeviceMaxThreadOccupancyConcretizerINS8_34FractionOffsetOccupancyConcretizerINS_8FractionImLm1ELm1EEELln1EEEEELb1EEENS_9Iterators16numeric_iteratorIllPlEEZN8rajaperf5lcals9FIRST_MIN26runHipVariantRAJANewReduceILm256ENSN_11gpu_mapping40global_loop_occupancy_grid_stride_helperEEEvNSN_9VariantIDEEUllRNS_4expt5ValOpINSU_6ValLocIdlEENS_9operators7minimumEEEE_lNSU_15ForallParamPackIJNSU_6detail7ReducerINSZ_ISX_SX_SX_EESX_S10_EEEEES7_SB_TnNSt9enable_ifIXaaaasr3std10is_base_ofINS5_15StridedLoopBaseET4_EE5valuesr3std10is_base_ofINS5_15UnsizedLoopBaseES1B_EE5valuegtsrT5_10block_sizeLi0EEmE4typeELm256EEEvT1_T0_T2_T3_.numbered_sgpr, 26
	.set _ZN4RAJA6policy3hip4impl18forallp_hip_kernelINS1_8hip_execINS_17iteration_mapping11StridedLoopILm0EEENS_3hip11IndexGlobalILNS_9named_dimE0ELi256ELi0EEENS8_40AvoidDeviceMaxThreadOccupancyConcretizerINS8_34FractionOffsetOccupancyConcretizerINS_8FractionImLm1ELm1EEELln1EEEEELb1EEENS_9Iterators16numeric_iteratorIllPlEEZN8rajaperf5lcals9FIRST_MIN26runHipVariantRAJANewReduceILm256ENSN_11gpu_mapping40global_loop_occupancy_grid_stride_helperEEEvNSN_9VariantIDEEUllRNS_4expt5ValOpINSU_6ValLocIdlEENS_9operators7minimumEEEE_lNSU_15ForallParamPackIJNSU_6detail7ReducerINSZ_ISX_SX_SX_EESX_S10_EEEEES7_SB_TnNSt9enable_ifIXaaaasr3std10is_base_ofINS5_15StridedLoopBaseET4_EE5valuesr3std10is_base_ofINS5_15UnsizedLoopBaseES1B_EE5valuegtsrT5_10block_sizeLi0EEmE4typeELm256EEEvT1_T0_T2_T3_.num_named_barrier, 0
	.set _ZN4RAJA6policy3hip4impl18forallp_hip_kernelINS1_8hip_execINS_17iteration_mapping11StridedLoopILm0EEENS_3hip11IndexGlobalILNS_9named_dimE0ELi256ELi0EEENS8_40AvoidDeviceMaxThreadOccupancyConcretizerINS8_34FractionOffsetOccupancyConcretizerINS_8FractionImLm1ELm1EEELln1EEEEELb1EEENS_9Iterators16numeric_iteratorIllPlEEZN8rajaperf5lcals9FIRST_MIN26runHipVariantRAJANewReduceILm256ENSN_11gpu_mapping40global_loop_occupancy_grid_stride_helperEEEvNSN_9VariantIDEEUllRNS_4expt5ValOpINSU_6ValLocIdlEENS_9operators7minimumEEEE_lNSU_15ForallParamPackIJNSU_6detail7ReducerINSZ_ISX_SX_SX_EESX_S10_EEEEES7_SB_TnNSt9enable_ifIXaaaasr3std10is_base_ofINS5_15StridedLoopBaseET4_EE5valuesr3std10is_base_ofINS5_15UnsizedLoopBaseES1B_EE5valuegtsrT5_10block_sizeLi0EEmE4typeELm256EEEvT1_T0_T2_T3_.private_seg_size, 0
	.set _ZN4RAJA6policy3hip4impl18forallp_hip_kernelINS1_8hip_execINS_17iteration_mapping11StridedLoopILm0EEENS_3hip11IndexGlobalILNS_9named_dimE0ELi256ELi0EEENS8_40AvoidDeviceMaxThreadOccupancyConcretizerINS8_34FractionOffsetOccupancyConcretizerINS_8FractionImLm1ELm1EEELln1EEEEELb1EEENS_9Iterators16numeric_iteratorIllPlEEZN8rajaperf5lcals9FIRST_MIN26runHipVariantRAJANewReduceILm256ENSN_11gpu_mapping40global_loop_occupancy_grid_stride_helperEEEvNSN_9VariantIDEEUllRNS_4expt5ValOpINSU_6ValLocIdlEENS_9operators7minimumEEEE_lNSU_15ForallParamPackIJNSU_6detail7ReducerINSZ_ISX_SX_SX_EESX_S10_EEEEES7_SB_TnNSt9enable_ifIXaaaasr3std10is_base_ofINS5_15StridedLoopBaseET4_EE5valuesr3std10is_base_ofINS5_15UnsizedLoopBaseES1B_EE5valuegtsrT5_10block_sizeLi0EEmE4typeELm256EEEvT1_T0_T2_T3_.uses_vcc, 1
	.set _ZN4RAJA6policy3hip4impl18forallp_hip_kernelINS1_8hip_execINS_17iteration_mapping11StridedLoopILm0EEENS_3hip11IndexGlobalILNS_9named_dimE0ELi256ELi0EEENS8_40AvoidDeviceMaxThreadOccupancyConcretizerINS8_34FractionOffsetOccupancyConcretizerINS_8FractionImLm1ELm1EEELln1EEEEELb1EEENS_9Iterators16numeric_iteratorIllPlEEZN8rajaperf5lcals9FIRST_MIN26runHipVariantRAJANewReduceILm256ENSN_11gpu_mapping40global_loop_occupancy_grid_stride_helperEEEvNSN_9VariantIDEEUllRNS_4expt5ValOpINSU_6ValLocIdlEENS_9operators7minimumEEEE_lNSU_15ForallParamPackIJNSU_6detail7ReducerINSZ_ISX_SX_SX_EESX_S10_EEEEES7_SB_TnNSt9enable_ifIXaaaasr3std10is_base_ofINS5_15StridedLoopBaseET4_EE5valuesr3std10is_base_ofINS5_15UnsizedLoopBaseES1B_EE5valuegtsrT5_10block_sizeLi0EEmE4typeELm256EEEvT1_T0_T2_T3_.uses_flat_scratch, 0
	.set _ZN4RAJA6policy3hip4impl18forallp_hip_kernelINS1_8hip_execINS_17iteration_mapping11StridedLoopILm0EEENS_3hip11IndexGlobalILNS_9named_dimE0ELi256ELi0EEENS8_40AvoidDeviceMaxThreadOccupancyConcretizerINS8_34FractionOffsetOccupancyConcretizerINS_8FractionImLm1ELm1EEELln1EEEEELb1EEENS_9Iterators16numeric_iteratorIllPlEEZN8rajaperf5lcals9FIRST_MIN26runHipVariantRAJANewReduceILm256ENSN_11gpu_mapping40global_loop_occupancy_grid_stride_helperEEEvNSN_9VariantIDEEUllRNS_4expt5ValOpINSU_6ValLocIdlEENS_9operators7minimumEEEE_lNSU_15ForallParamPackIJNSU_6detail7ReducerINSZ_ISX_SX_SX_EESX_S10_EEEEES7_SB_TnNSt9enable_ifIXaaaasr3std10is_base_ofINS5_15StridedLoopBaseET4_EE5valuesr3std10is_base_ofINS5_15UnsizedLoopBaseES1B_EE5valuegtsrT5_10block_sizeLi0EEmE4typeELm256EEEvT1_T0_T2_T3_.has_dyn_sized_stack, 0
	.set _ZN4RAJA6policy3hip4impl18forallp_hip_kernelINS1_8hip_execINS_17iteration_mapping11StridedLoopILm0EEENS_3hip11IndexGlobalILNS_9named_dimE0ELi256ELi0EEENS8_40AvoidDeviceMaxThreadOccupancyConcretizerINS8_34FractionOffsetOccupancyConcretizerINS_8FractionImLm1ELm1EEELln1EEEEELb1EEENS_9Iterators16numeric_iteratorIllPlEEZN8rajaperf5lcals9FIRST_MIN26runHipVariantRAJANewReduceILm256ENSN_11gpu_mapping40global_loop_occupancy_grid_stride_helperEEEvNSN_9VariantIDEEUllRNS_4expt5ValOpINSU_6ValLocIdlEENS_9operators7minimumEEEE_lNSU_15ForallParamPackIJNSU_6detail7ReducerINSZ_ISX_SX_SX_EESX_S10_EEEEES7_SB_TnNSt9enable_ifIXaaaasr3std10is_base_ofINS5_15StridedLoopBaseET4_EE5valuesr3std10is_base_ofINS5_15UnsizedLoopBaseES1B_EE5valuegtsrT5_10block_sizeLi0EEmE4typeELm256EEEvT1_T0_T2_T3_.has_recursion, 0
	.set _ZN4RAJA6policy3hip4impl18forallp_hip_kernelINS1_8hip_execINS_17iteration_mapping11StridedLoopILm0EEENS_3hip11IndexGlobalILNS_9named_dimE0ELi256ELi0EEENS8_40AvoidDeviceMaxThreadOccupancyConcretizerINS8_34FractionOffsetOccupancyConcretizerINS_8FractionImLm1ELm1EEELln1EEEEELb1EEENS_9Iterators16numeric_iteratorIllPlEEZN8rajaperf5lcals9FIRST_MIN26runHipVariantRAJANewReduceILm256ENSN_11gpu_mapping40global_loop_occupancy_grid_stride_helperEEEvNSN_9VariantIDEEUllRNS_4expt5ValOpINSU_6ValLocIdlEENS_9operators7minimumEEEE_lNSU_15ForallParamPackIJNSU_6detail7ReducerINSZ_ISX_SX_SX_EESX_S10_EEEEES7_SB_TnNSt9enable_ifIXaaaasr3std10is_base_ofINS5_15StridedLoopBaseET4_EE5valuesr3std10is_base_ofINS5_15UnsizedLoopBaseES1B_EE5valuegtsrT5_10block_sizeLi0EEmE4typeELm256EEEvT1_T0_T2_T3_.has_indirect_call, 0
	.section	.AMDGPU.csdata,"",@progbits
; Kernel info:
; codeLenInByte = 2848
; TotalNumSgprs: 30
; NumVgprs: 21
; ScratchSize: 0
; MemoryBound: 0
; FloatMode: 240
; IeeeMode: 1
; LDSByteSize: 512 bytes/workgroup (compile time only)
; SGPRBlocks: 3
; VGPRBlocks: 5
; NumSGPRsForWavesPerEU: 30
; NumVGPRsForWavesPerEU: 21
; Occupancy: 10
; WaveLimiterHint : 0
; COMPUTE_PGM_RSRC2:SCRATCH_EN: 0
; COMPUTE_PGM_RSRC2:USER_SGPR: 6
; COMPUTE_PGM_RSRC2:TRAP_HANDLER: 0
; COMPUTE_PGM_RSRC2:TGID_X_EN: 1
; COMPUTE_PGM_RSRC2:TGID_Y_EN: 0
; COMPUTE_PGM_RSRC2:TGID_Z_EN: 0
; COMPUTE_PGM_RSRC2:TIDIG_COMP_CNT: 2
	.section	.AMDGPU.gpr_maximums,"",@progbits
	.set amdgpu.max_num_vgpr, 0
	.set amdgpu.max_num_agpr, 0
	.set amdgpu.max_num_sgpr, 0
	.section	.AMDGPU.csdata,"",@progbits
	.type	__hip_cuid_ac86142886baac31,@object ; @__hip_cuid_ac86142886baac31
	.section	.bss,"aw",@nobits
	.globl	__hip_cuid_ac86142886baac31
__hip_cuid_ac86142886baac31:
	.byte	0                               ; 0x0
	.size	__hip_cuid_ac86142886baac31, 1

	.ident	"AMD clang version 22.0.0git (https://github.com/RadeonOpenCompute/llvm-project roc-7.2.4 26084 f58b06dce1f9c15707c5f808fd002e18c2accf7e)"
	.section	".note.GNU-stack","",@progbits
	.addrsig
	.addrsig_sym __hip_cuid_ac86142886baac31
	.amdgpu_metadata
---
amdhsa.kernels:
  - .args:
      - .address_space:  global
        .offset:         0
        .size:           8
        .value_kind:     global_buffer
      - .address_space:  global
        .offset:         8
        .size:           8
        .value_kind:     global_buffer
      - .offset:         16
        .size:           16
        .value_kind:     by_value
      - .offset:         32
        .size:           8
        .value_kind:     by_value
      - .offset:         40
        .size:           4
        .value_kind:     hidden_block_count_x
      - .offset:         44
        .size:           4
        .value_kind:     hidden_block_count_y
      - .offset:         48
        .size:           4
        .value_kind:     hidden_block_count_z
      - .offset:         52
        .size:           2
        .value_kind:     hidden_group_size_x
      - .offset:         54
        .size:           2
        .value_kind:     hidden_group_size_y
      - .offset:         56
        .size:           2
        .value_kind:     hidden_group_size_z
      - .offset:         58
        .size:           2
        .value_kind:     hidden_remainder_x
      - .offset:         60
        .size:           2
        .value_kind:     hidden_remainder_y
      - .offset:         62
        .size:           2
        .value_kind:     hidden_remainder_z
      - .offset:         80
        .size:           8
        .value_kind:     hidden_global_offset_x
      - .offset:         88
        .size:           8
        .value_kind:     hidden_global_offset_y
      - .offset:         96
        .size:           8
        .value_kind:     hidden_global_offset_z
      - .offset:         104
        .size:           2
        .value_kind:     hidden_grid_dims
      - .offset:         160
        .size:           4
        .value_kind:     hidden_dynamic_lds_size
    .group_segment_fixed_size: 0
    .kernarg_segment_align: 8
    .kernarg_segment_size: 296
    .language:       OpenCL C
    .language_version:
      - 2
      - 0
    .max_flat_workgroup_size: 256
    .name:           _ZN8rajaperf5lcals9first_minILm256EEEvPdP8MyMinLocS3_l
    .private_segment_fixed_size: 0
    .sgpr_count:     20
    .sgpr_spill_count: 0
    .symbol:         _ZN8rajaperf5lcals9first_minILm256EEEvPdP8MyMinLocS3_l.kd
    .uniform_work_group_size: 1
    .uses_dynamic_stack: false
    .vgpr_count:     10
    .vgpr_spill_count: 0
    .wavefront_size: 64
  - .args:
      - .offset:         0
        .size:           88
        .value_kind:     by_value
      - .offset:         88
        .size:           8
        .value_kind:     by_value
      - .offset:         96
        .size:           8
        .value_kind:     by_value
      - .offset:         104
        .size:           1
        .value_kind:     by_value
      - .offset:         112
        .size:           4
        .value_kind:     hidden_block_count_x
      - .offset:         116
        .size:           4
        .value_kind:     hidden_block_count_y
      - .offset:         120
        .size:           4
        .value_kind:     hidden_block_count_z
      - .offset:         124
        .size:           2
        .value_kind:     hidden_group_size_x
      - .offset:         126
        .size:           2
        .value_kind:     hidden_group_size_y
      - .offset:         128
        .size:           2
        .value_kind:     hidden_group_size_z
      - .offset:         130
        .size:           2
        .value_kind:     hidden_remainder_x
      - .offset:         132
        .size:           2
        .value_kind:     hidden_remainder_y
      - .offset:         134
        .size:           2
        .value_kind:     hidden_remainder_z
      - .offset:         152
        .size:           8
        .value_kind:     hidden_global_offset_x
      - .offset:         160
        .size:           8
        .value_kind:     hidden_global_offset_y
      - .offset:         168
        .size:           8
        .value_kind:     hidden_global_offset_z
      - .offset:         176
        .size:           2
        .value_kind:     hidden_grid_dims
    .group_segment_fixed_size: 257
    .kernarg_segment_align: 8
    .kernarg_segment_size: 368
    .language:       OpenCL C
    .language_version:
      - 2
      - 0
    .max_flat_workgroup_size: 256
    .name:           _ZN4RAJA6policy3hip4impl18forallp_hip_kernelINS1_8hip_execINS_17iteration_mapping6DirectENS_3hip11IndexGlobalILNS_9named_dimE0ELi256ELi0EEENS7_40AvoidDeviceMaxThreadOccupancyConcretizerINS7_34FractionOffsetOccupancyConcretizerINS_8FractionImLm1ELm1EEELln1EEEEELb1EEENS_9Iterators16numeric_iteratorIllPlEEZN8rajaperf5lcals9FIRST_MIN17runHipVariantRAJAILm256ENSM_11gpu_mapping20global_direct_helperEEEvNSM_9VariantIDEEUllE_lNS_4expt15ForallParamPackIJEEES6_SA_TnNSt9enable_ifIXaasr3std10is_base_ofINS5_10DirectBaseET4_EE5valuegtsrT5_10block_sizeLi0EEmE4typeELm256EEEvT1_T0_T2_T3_
    .private_segment_fixed_size: 0
    .sgpr_count:     36
    .sgpr_spill_count: 0
    .symbol:         _ZN4RAJA6policy3hip4impl18forallp_hip_kernelINS1_8hip_execINS_17iteration_mapping6DirectENS_3hip11IndexGlobalILNS_9named_dimE0ELi256ELi0EEENS7_40AvoidDeviceMaxThreadOccupancyConcretizerINS7_34FractionOffsetOccupancyConcretizerINS_8FractionImLm1ELm1EEELln1EEEEELb1EEENS_9Iterators16numeric_iteratorIllPlEEZN8rajaperf5lcals9FIRST_MIN17runHipVariantRAJAILm256ENSM_11gpu_mapping20global_direct_helperEEEvNSM_9VariantIDEEUllE_lNS_4expt15ForallParamPackIJEEES6_SA_TnNSt9enable_ifIXaasr3std10is_base_ofINS5_10DirectBaseET4_EE5valuegtsrT5_10block_sizeLi0EEmE4typeELm256EEEvT1_T0_T2_T3_.kd
    .uniform_work_group_size: 1
    .uses_dynamic_stack: false
    .vgpr_count:     32
    .vgpr_spill_count: 0
    .wavefront_size: 64
  - .args:
      - .address_space:  global
        .offset:         0
        .size:           8
        .value_kind:     global_buffer
      - .offset:         8
        .size:           8
        .value_kind:     by_value
      - .offset:         16
        .size:           8
        .value_kind:     by_value
      - .offset:         24
        .size:           64
        .value_kind:     by_value
      - .offset:         88
        .size:           4
        .value_kind:     hidden_block_count_x
      - .offset:         92
        .size:           4
        .value_kind:     hidden_block_count_y
      - .offset:         96
        .size:           4
        .value_kind:     hidden_block_count_z
      - .offset:         100
        .size:           2
        .value_kind:     hidden_group_size_x
      - .offset:         102
        .size:           2
        .value_kind:     hidden_group_size_y
      - .offset:         104
        .size:           2
        .value_kind:     hidden_group_size_z
      - .offset:         106
        .size:           2
        .value_kind:     hidden_remainder_x
      - .offset:         108
        .size:           2
        .value_kind:     hidden_remainder_y
      - .offset:         110
        .size:           2
        .value_kind:     hidden_remainder_z
      - .offset:         128
        .size:           8
        .value_kind:     hidden_global_offset_x
      - .offset:         136
        .size:           8
        .value_kind:     hidden_global_offset_y
      - .offset:         144
        .size:           8
        .value_kind:     hidden_global_offset_z
      - .offset:         152
        .size:           2
        .value_kind:     hidden_grid_dims
    .group_segment_fixed_size: 512
    .kernarg_segment_align: 8
    .kernarg_segment_size: 344
    .language:       OpenCL C
    .language_version:
      - 2
      - 0
    .max_flat_workgroup_size: 256
    .name:           _ZN4RAJA6policy3hip4impl18forallp_hip_kernelINS1_8hip_execINS_17iteration_mapping6DirectENS_3hip11IndexGlobalILNS_9named_dimE0ELi256ELi0EEENS7_40AvoidDeviceMaxThreadOccupancyConcretizerINS7_34FractionOffsetOccupancyConcretizerINS_8FractionImLm1ELm1EEELln1EEEEELb1EEENS_9Iterators16numeric_iteratorIllPlEEZN8rajaperf5lcals9FIRST_MIN26runHipVariantRAJANewReduceILm256ENSM_11gpu_mapping20global_direct_helperEEEvNSM_9VariantIDEEUllRNS_4expt5ValOpINST_6ValLocIdlEENS_9operators7minimumEEEE_lNST_15ForallParamPackIJNST_6detail7ReducerINSY_ISW_SW_SW_EESW_SZ_EEEEES6_SA_TnNSt9enable_ifIXaasr3std10is_base_ofINS5_10DirectBaseET4_EE5valuegtsrT5_10block_sizeLi0EEmE4typeELm256EEEvT1_T0_T2_T3_
    .private_segment_fixed_size: 0
    .sgpr_count:     30
    .sgpr_spill_count: 0
    .symbol:         _ZN4RAJA6policy3hip4impl18forallp_hip_kernelINS1_8hip_execINS_17iteration_mapping6DirectENS_3hip11IndexGlobalILNS_9named_dimE0ELi256ELi0EEENS7_40AvoidDeviceMaxThreadOccupancyConcretizerINS7_34FractionOffsetOccupancyConcretizerINS_8FractionImLm1ELm1EEELln1EEEEELb1EEENS_9Iterators16numeric_iteratorIllPlEEZN8rajaperf5lcals9FIRST_MIN26runHipVariantRAJANewReduceILm256ENSM_11gpu_mapping20global_direct_helperEEEvNSM_9VariantIDEEUllRNS_4expt5ValOpINST_6ValLocIdlEENS_9operators7minimumEEEE_lNST_15ForallParamPackIJNST_6detail7ReducerINSY_ISW_SW_SW_EESW_SZ_EEEEES6_SA_TnNSt9enable_ifIXaasr3std10is_base_ofINS5_10DirectBaseET4_EE5valuegtsrT5_10block_sizeLi0EEmE4typeELm256EEEvT1_T0_T2_T3_.kd
    .uniform_work_group_size: 1
    .uses_dynamic_stack: false
    .vgpr_count:     21
    .vgpr_spill_count: 0
    .wavefront_size: 64
  - .args:
      - .offset:         0
        .size:           88
        .value_kind:     by_value
      - .offset:         88
        .size:           8
        .value_kind:     by_value
      - .offset:         96
        .size:           8
        .value_kind:     by_value
      - .offset:         104
        .size:           1
        .value_kind:     by_value
      - .offset:         112
        .size:           4
        .value_kind:     hidden_block_count_x
      - .offset:         116
        .size:           4
        .value_kind:     hidden_block_count_y
      - .offset:         120
        .size:           4
        .value_kind:     hidden_block_count_z
      - .offset:         124
        .size:           2
        .value_kind:     hidden_group_size_x
      - .offset:         126
        .size:           2
        .value_kind:     hidden_group_size_y
      - .offset:         128
        .size:           2
        .value_kind:     hidden_group_size_z
      - .offset:         130
        .size:           2
        .value_kind:     hidden_remainder_x
      - .offset:         132
        .size:           2
        .value_kind:     hidden_remainder_y
      - .offset:         134
        .size:           2
        .value_kind:     hidden_remainder_z
      - .offset:         152
        .size:           8
        .value_kind:     hidden_global_offset_x
      - .offset:         160
        .size:           8
        .value_kind:     hidden_global_offset_y
      - .offset:         168
        .size:           8
        .value_kind:     hidden_global_offset_z
      - .offset:         176
        .size:           2
        .value_kind:     hidden_grid_dims
    .group_segment_fixed_size: 257
    .kernarg_segment_align: 8
    .kernarg_segment_size: 368
    .language:       OpenCL C
    .language_version:
      - 2
      - 0
    .max_flat_workgroup_size: 256
    .name:           _ZN4RAJA6policy3hip4impl18forallp_hip_kernelINS1_8hip_execINS_17iteration_mapping11StridedLoopILm0EEENS_3hip11IndexGlobalILNS_9named_dimE0ELi256ELi0EEENS8_40AvoidDeviceMaxThreadOccupancyConcretizerINS8_34FractionOffsetOccupancyConcretizerINS_8FractionImLm1ELm1EEELln1EEEEELb1EEENS_9Iterators16numeric_iteratorIllPlEEZN8rajaperf5lcals9FIRST_MIN17runHipVariantRAJAILm256ENSN_11gpu_mapping40global_loop_occupancy_grid_stride_helperEEEvNSN_9VariantIDEEUllE_lNS_4expt15ForallParamPackIJEEES7_SB_TnNSt9enable_ifIXaaaasr3std10is_base_ofINS5_15StridedLoopBaseET4_EE5valuesr3std10is_base_ofINS5_15UnsizedLoopBaseES10_EE5valuegtsrT5_10block_sizeLi0EEmE4typeELm256EEEvT1_T0_T2_T3_
    .private_segment_fixed_size: 0
    .sgpr_count:     36
    .sgpr_spill_count: 0
    .symbol:         _ZN4RAJA6policy3hip4impl18forallp_hip_kernelINS1_8hip_execINS_17iteration_mapping11StridedLoopILm0EEENS_3hip11IndexGlobalILNS_9named_dimE0ELi256ELi0EEENS8_40AvoidDeviceMaxThreadOccupancyConcretizerINS8_34FractionOffsetOccupancyConcretizerINS_8FractionImLm1ELm1EEELln1EEEEELb1EEENS_9Iterators16numeric_iteratorIllPlEEZN8rajaperf5lcals9FIRST_MIN17runHipVariantRAJAILm256ENSN_11gpu_mapping40global_loop_occupancy_grid_stride_helperEEEvNSN_9VariantIDEEUllE_lNS_4expt15ForallParamPackIJEEES7_SB_TnNSt9enable_ifIXaaaasr3std10is_base_ofINS5_15StridedLoopBaseET4_EE5valuesr3std10is_base_ofINS5_15UnsizedLoopBaseES10_EE5valuegtsrT5_10block_sizeLi0EEmE4typeELm256EEEvT1_T0_T2_T3_.kd
    .uniform_work_group_size: 1
    .uses_dynamic_stack: false
    .vgpr_count:     32
    .vgpr_spill_count: 0
    .wavefront_size: 64
  - .args:
      - .address_space:  global
        .offset:         0
        .size:           8
        .value_kind:     global_buffer
      - .offset:         8
        .size:           8
        .value_kind:     by_value
      - .offset:         16
        .size:           8
        .value_kind:     by_value
      - .offset:         24
        .size:           64
        .value_kind:     by_value
      - .offset:         88
        .size:           4
        .value_kind:     hidden_block_count_x
      - .offset:         92
        .size:           4
        .value_kind:     hidden_block_count_y
      - .offset:         96
        .size:           4
        .value_kind:     hidden_block_count_z
      - .offset:         100
        .size:           2
        .value_kind:     hidden_group_size_x
      - .offset:         102
        .size:           2
        .value_kind:     hidden_group_size_y
      - .offset:         104
        .size:           2
        .value_kind:     hidden_group_size_z
      - .offset:         106
        .size:           2
        .value_kind:     hidden_remainder_x
      - .offset:         108
        .size:           2
        .value_kind:     hidden_remainder_y
      - .offset:         110
        .size:           2
        .value_kind:     hidden_remainder_z
      - .offset:         128
        .size:           8
        .value_kind:     hidden_global_offset_x
      - .offset:         136
        .size:           8
        .value_kind:     hidden_global_offset_y
      - .offset:         144
        .size:           8
        .value_kind:     hidden_global_offset_z
      - .offset:         152
        .size:           2
        .value_kind:     hidden_grid_dims
    .group_segment_fixed_size: 512
    .kernarg_segment_align: 8
    .kernarg_segment_size: 344
    .language:       OpenCL C
    .language_version:
      - 2
      - 0
    .max_flat_workgroup_size: 256
    .name:           _ZN4RAJA6policy3hip4impl18forallp_hip_kernelINS1_8hip_execINS_17iteration_mapping11StridedLoopILm0EEENS_3hip11IndexGlobalILNS_9named_dimE0ELi256ELi0EEENS8_40AvoidDeviceMaxThreadOccupancyConcretizerINS8_34FractionOffsetOccupancyConcretizerINS_8FractionImLm1ELm1EEELln1EEEEELb1EEENS_9Iterators16numeric_iteratorIllPlEEZN8rajaperf5lcals9FIRST_MIN26runHipVariantRAJANewReduceILm256ENSN_11gpu_mapping40global_loop_occupancy_grid_stride_helperEEEvNSN_9VariantIDEEUllRNS_4expt5ValOpINSU_6ValLocIdlEENS_9operators7minimumEEEE_lNSU_15ForallParamPackIJNSU_6detail7ReducerINSZ_ISX_SX_SX_EESX_S10_EEEEES7_SB_TnNSt9enable_ifIXaaaasr3std10is_base_ofINS5_15StridedLoopBaseET4_EE5valuesr3std10is_base_ofINS5_15UnsizedLoopBaseES1B_EE5valuegtsrT5_10block_sizeLi0EEmE4typeELm256EEEvT1_T0_T2_T3_
    .private_segment_fixed_size: 0
    .sgpr_count:     30
    .sgpr_spill_count: 0
    .symbol:         _ZN4RAJA6policy3hip4impl18forallp_hip_kernelINS1_8hip_execINS_17iteration_mapping11StridedLoopILm0EEENS_3hip11IndexGlobalILNS_9named_dimE0ELi256ELi0EEENS8_40AvoidDeviceMaxThreadOccupancyConcretizerINS8_34FractionOffsetOccupancyConcretizerINS_8FractionImLm1ELm1EEELln1EEEEELb1EEENS_9Iterators16numeric_iteratorIllPlEEZN8rajaperf5lcals9FIRST_MIN26runHipVariantRAJANewReduceILm256ENSN_11gpu_mapping40global_loop_occupancy_grid_stride_helperEEEvNSN_9VariantIDEEUllRNS_4expt5ValOpINSU_6ValLocIdlEENS_9operators7minimumEEEE_lNSU_15ForallParamPackIJNSU_6detail7ReducerINSZ_ISX_SX_SX_EESX_S10_EEEEES7_SB_TnNSt9enable_ifIXaaaasr3std10is_base_ofINS5_15StridedLoopBaseET4_EE5valuesr3std10is_base_ofINS5_15UnsizedLoopBaseES1B_EE5valuegtsrT5_10block_sizeLi0EEmE4typeELm256EEEvT1_T0_T2_T3_.kd
    .uniform_work_group_size: 1
    .uses_dynamic_stack: false
    .vgpr_count:     21
    .vgpr_spill_count: 0
    .wavefront_size: 64
amdhsa.target:   amdgcn-amd-amdhsa--gfx906
amdhsa.version:
  - 1
  - 2
...

	.end_amdgpu_metadata
